;; amdgpu-corpus repo=ROCm/rocFFT kind=compiled arch=gfx1030 opt=O3
	.text
	.amdgcn_target "amdgcn-amd-amdhsa--gfx1030"
	.amdhsa_code_object_version 6
	.protected	bluestein_single_back_len153_dim1_dp_op_CI_CI ; -- Begin function bluestein_single_back_len153_dim1_dp_op_CI_CI
	.globl	bluestein_single_back_len153_dim1_dp_op_CI_CI
	.p2align	8
	.type	bluestein_single_back_len153_dim1_dp_op_CI_CI,@function
bluestein_single_back_len153_dim1_dp_op_CI_CI: ; @bluestein_single_back_len153_dim1_dp_op_CI_CI
; %bb.0:
	s_mov_b64 s[58:59], s[2:3]
	s_mov_b64 s[56:57], s[0:1]
	s_load_dwordx4 s[0:3], s[4:5], 0x28
	v_mul_u32_u24_e32 v1, 0xf10, v0
	s_add_u32 s56, s56, s7
	s_addc_u32 s57, s57, 0
	v_lshrrev_b32_e32 v1, 16, v1
	v_mad_u64_u32 v[116:117], null, s6, 7, v[1:2]
	v_mov_b32_e32 v117, 0
	s_waitcnt lgkmcnt(0)
	v_cmp_gt_u64_e32 vcc_lo, s[0:1], v[116:117]
	s_and_saveexec_b32 s0, vcc_lo
	s_cbranch_execz .LBB0_15
; %bb.1:
	v_mul_hi_u32 v2, 0x24924925, v116
	v_mul_lo_u16 v1, v1, 17
	s_clause 0x1
	s_load_dwordx2 s[12:13], s[4:5], 0x0
	s_load_dwordx2 s[14:15], s[4:5], 0x38
	v_sub_nc_u16 v0, v0, v1
	v_sub_nc_u32_e32 v3, v116, v2
	v_cmp_gt_u16_e32 vcc_lo, 9, v0
	v_lshrrev_b32_e32 v3, 1, v3
	v_add_nc_u32_e32 v2, v3, v2
	v_lshrrev_b32_e32 v2, 2, v2
	v_mul_lo_u32 v2, v2, 7
	v_sub_nc_u32_e32 v1, v116, v2
	v_and_b32_e32 v2, 0xffff, v0
	v_mul_u32_u24_e32 v1, 0x99, v1
	v_lshlrev_b32_e32 v255, 4, v2
	v_lshlrev_b32_e32 v0, 4, v1
	buffer_store_dword v1, off, s[56:59], 0 offset:4 ; 4-byte Folded Spill
	buffer_store_dword v0, off, s[56:59], 0 offset:8 ; 4-byte Folded Spill
	buffer_store_dword v2, off, s[56:59], 0 ; 4-byte Folded Spill
	v_or_b32_e32 v0, 0x90, v2
	buffer_store_dword v0, off, s[56:59], 0 offset:16 ; 4-byte Folded Spill
	s_and_saveexec_b32 s1, vcc_lo
	s_cbranch_execz .LBB0_3
; %bb.2:
	s_load_dwordx2 s[6:7], s[4:5], 0x18
	s_waitcnt lgkmcnt(0)
	v_add_co_u32 v50, s0, s12, v255
	v_add_co_ci_u32_e64 v51, null, s13, 0, s0
	v_add_co_u32 v129, s0, 0x800, v50
	v_add_co_ci_u32_e64 v130, s0, 0, v51, s0
	s_load_dwordx4 s[8:11], s[6:7], 0x0
	s_clause 0x5
	global_load_dwordx4 v[0:3], v255, s[12:13] offset:144
	global_load_dwordx4 v[4:7], v255, s[12:13] offset:288
	;; [unrolled: 1-line block ×6, first 2 shown]
	buffer_load_dword v153, off, s[56:59], 0 ; 4-byte Folded Reload
	s_clause 0x5
	global_load_dwordx4 v[24:27], v255, s[12:13] offset:1008
	global_load_dwordx4 v[28:31], v255, s[12:13] offset:1152
	;; [unrolled: 1-line block ×6, first 2 shown]
	s_waitcnt lgkmcnt(0)
	v_mad_u64_u32 v[56:57], null, s10, v116, 0
	s_mul_i32 s0, s9, 0x90
	s_mul_hi_u32 s6, s8, 0x90
	s_mul_i32 s7, s8, 0x90
	s_add_i32 s6, s6, s0
	v_mov_b32_e32 v48, v57
	s_waitcnt vmcnt(6)
	v_mad_u64_u32 v[58:59], null, s8, v153, 0
	v_or_b32_e32 v65, 0x90, v153
	v_mad_u64_u32 v[60:61], null, s8, v65, 0
	v_mov_b32_e32 v49, v59
	v_lshlrev_b32_e32 v52, 4, v65
	v_mad_u64_u32 v[62:63], null, s11, v116, v[48:49]
	v_mad_u64_u32 v[63:64], null, s9, v153, v[49:50]
	s_clause 0x1
	global_load_dwordx4 v[48:51], v255, s[12:13]
	global_load_dwordx4 v[52:55], v52, s[12:13]
	v_mov_b32_e32 v57, v62
	v_mad_u64_u32 v[61:62], null, s9, v65, v[61:62]
	v_mov_b32_e32 v59, v63
	v_lshlrev_b64 v[56:57], 4, v[56:57]
	v_lshlrev_b64 v[58:59], 4, v[58:59]
	v_add_co_u32 v66, s0, s2, v56
	v_add_co_ci_u32_e64 v67, s0, s3, v57, s0
	v_lshlrev_b64 v[56:57], 4, v[60:61]
	v_add_co_u32 v62, s0, v66, v58
	v_add_co_ci_u32_e64 v63, s0, v67, v59, s0
	v_add_co_u32 v64, s0, v62, s7
	v_add_co_ci_u32_e64 v65, s0, s6, v63, s0
	;; [unrolled: 2-line block ×4, first 2 shown]
	global_load_dwordx4 v[56:59], v[56:57], off
	v_add_co_u32 v72, s0, v68, s7
	s_clause 0x1
	global_load_dwordx4 v[60:63], v[62:63], off
	global_load_dwordx4 v[64:67], v[64:65], off
	v_add_co_ci_u32_e64 v73, s0, s6, v69, s0
	v_add_co_u32 v76, s0, v72, s7
	v_add_co_ci_u32_e64 v77, s0, s6, v73, s0
	v_add_co_u32 v80, s0, v76, s7
	s_clause 0x1
	global_load_dwordx4 v[68:71], v[68:69], off
	global_load_dwordx4 v[72:75], v[72:73], off
	v_add_co_ci_u32_e64 v81, s0, s6, v77, s0
	v_add_co_u32 v84, s0, v80, s7
	global_load_dwordx4 v[76:79], v[76:77], off
	v_add_co_ci_u32_e64 v85, s0, s6, v81, s0
	v_add_co_u32 v88, s0, v84, s7
	global_load_dwordx4 v[80:83], v[80:81], off
	v_add_co_ci_u32_e64 v89, s0, s6, v85, s0
	global_load_dwordx4 v[84:87], v[84:85], off
	v_add_co_u32 v92, s0, v88, s7
	v_add_co_ci_u32_e64 v93, s0, s6, v89, s0
	global_load_dwordx4 v[88:91], v[88:89], off
	v_add_co_u32 v96, s0, v92, s7
	;; [unrolled: 3-line block ×8, first 2 shown]
	v_add_co_ci_u32_e64 v134, s0, s6, v126, s0
	s_clause 0x1
	global_load_dwordx4 v[117:120], v255, s[12:13] offset:1872
	global_load_dwordx4 v[121:124], v255, s[12:13] offset:2016
	global_load_dwordx4 v[125:128], v[125:126], off
	global_load_dwordx4 v[129:132], v[129:130], off offset:112
	global_load_dwordx4 v[133:136], v[133:134], off
	s_waitcnt vmcnt(19)
	v_mul_f64 v[139:140], v[58:59], v[54:55]
	v_mul_f64 v[151:152], v[56:57], v[54:55]
	s_waitcnt vmcnt(18)
	v_mul_f64 v[137:138], v[62:63], v[50:51]
	v_mul_f64 v[50:51], v[60:61], v[50:51]
	;; [unrolled: 3-line block ×6, first 2 shown]
	v_fma_f64 v[2:3], v[56:57], v[52:53], v[139:140]
	v_fma_f64 v[60:61], v[60:61], v[48:49], v[137:138]
	v_fma_f64 v[62:63], v[62:63], v[48:49], -v[50:51]
	s_waitcnt vmcnt(13)
	v_mul_f64 v[137:138], v[82:83], v[18:19]
	v_mul_f64 v[18:19], v[80:81], v[18:19]
	v_fma_f64 v[48:49], v[64:65], v[0:1], v[141:142]
	v_fma_f64 v[50:51], v[66:67], v[0:1], -v[143:144]
	s_waitcnt vmcnt(12)
	v_mul_f64 v[0:1], v[86:87], v[22:23]
	v_mul_f64 v[22:23], v[84:85], v[22:23]
	v_fma_f64 v[54:55], v[68:69], v[4:5], v[145:146]
	v_fma_f64 v[56:57], v[70:71], v[4:5], -v[6:7]
	v_fma_f64 v[6:7], v[72:73], v[8:9], v[147:148]
	v_fma_f64 v[8:9], v[74:75], v[8:9], -v[10:11]
	s_waitcnt vmcnt(11)
	v_mul_f64 v[4:5], v[90:91], v[26:27]
	v_mul_f64 v[26:27], v[88:89], v[26:27]
	v_fma_f64 v[10:11], v[76:77], v[12:13], v[149:150]
	v_fma_f64 v[12:13], v[78:79], v[12:13], -v[14:15]
	s_waitcnt vmcnt(10)
	v_mul_f64 v[64:65], v[94:95], v[30:31]
	v_mul_f64 v[30:31], v[92:93], v[30:31]
	s_waitcnt vmcnt(9)
	v_mul_f64 v[66:67], v[98:99], v[34:35]
	v_mul_f64 v[34:35], v[96:97], v[34:35]
	;; [unrolled: 3-line block ×3, first 2 shown]
	v_fma_f64 v[14:15], v[80:81], v[16:17], v[137:138]
	v_fma_f64 v[16:17], v[82:83], v[16:17], -v[18:19]
	s_waitcnt vmcnt(7)
	v_mul_f64 v[70:71], v[106:107], v[42:43]
	v_fma_f64 v[18:19], v[84:85], v[20:21], v[0:1]
	buffer_load_dword v1, off, s[56:59], 0 offset:8 ; 4-byte Folded Reload
	v_mul_f64 v[42:43], v[104:105], v[42:43]
	v_fma_f64 v[20:21], v[86:87], v[20:21], -v[22:23]
	s_waitcnt vmcnt(7)
	v_mul_f64 v[72:73], v[110:111], v[46:47]
	v_mul_f64 v[46:47], v[108:109], v[46:47]
	v_fma_f64 v[22:23], v[88:89], v[24:25], v[4:5]
	v_fma_f64 v[24:25], v[90:91], v[24:25], -v[26:27]
	s_waitcnt vmcnt(5)
	v_mul_f64 v[74:75], v[114:115], v[119:120]
	v_mul_f64 v[76:77], v[112:113], v[119:120]
	s_waitcnt vmcnt(3)
	v_mul_f64 v[78:79], v[127:128], v[123:124]
	v_mul_f64 v[119:120], v[125:126], v[123:124]
	;; [unrolled: 3-line block ×3, first 2 shown]
	v_fma_f64 v[26:27], v[92:93], v[28:29], v[64:65]
	v_fma_f64 v[28:29], v[94:95], v[28:29], -v[30:31]
	v_fma_f64 v[30:31], v[96:97], v[32:33], v[66:67]
	v_fma_f64 v[32:33], v[98:99], v[32:33], -v[34:35]
	v_fma_f64 v[34:35], v[100:101], v[36:37], v[68:69]
	v_fma_f64 v[36:37], v[102:103], v[36:37], -v[38:39]
	v_fma_f64 v[38:39], v[104:105], v[40:41], v[70:71]
	v_fma_f64 v[4:5], v[58:59], v[52:53], -v[151:152]
	v_fma_f64 v[40:41], v[106:107], v[40:41], -v[42:43]
	v_fma_f64 v[42:43], v[108:109], v[44:45], v[72:73]
	v_fma_f64 v[44:45], v[110:111], v[44:45], -v[46:47]
	v_fma_f64 v[64:65], v[112:113], v[117:118], v[74:75]
	;; [unrolled: 2-line block ×4, first 2 shown]
	v_fma_f64 v[74:75], v[135:136], v[129:130], -v[131:132]
	s_waitcnt vmcnt(0)
	v_lshl_add_u32 v0, v153, 4, v1
	v_add_nc_u32_e32 v1, v1, v255
	ds_write_b128 v0, v[60:63]
	ds_write_b128 v1, v[48:51] offset:144
	ds_write_b128 v1, v[54:57] offset:288
	;; [unrolled: 1-line block ×16, first 2 shown]
.LBB0_3:
	s_or_b32 exec_lo, exec_lo, s1
	s_clause 0x1
	s_load_dwordx2 s[2:3], s[4:5], 0x20
	s_load_dwordx2 s[0:1], s[4:5], 0x8
	s_waitcnt lgkmcnt(0)
	s_waitcnt_vscnt null, 0x0
	s_barrier
	buffer_gl0_inv
                                        ; implicit-def: $vgpr38_vgpr39
                                        ; implicit-def: $vgpr52_vgpr53
                                        ; implicit-def: $vgpr56_vgpr57
                                        ; implicit-def: $vgpr60_vgpr61
                                        ; implicit-def: $vgpr64_vgpr65
                                        ; implicit-def: $vgpr68_vgpr69
                                        ; implicit-def: $vgpr72_vgpr73
                                        ; implicit-def: $vgpr76_vgpr77
                                        ; implicit-def: $vgpr84_vgpr85
                                        ; implicit-def: $vgpr88_vgpr89
                                        ; implicit-def: $vgpr92_vgpr93
                                        ; implicit-def: $vgpr96_vgpr97
                                        ; implicit-def: $vgpr80_vgpr81
                                        ; implicit-def: $vgpr48_vgpr49
                                        ; implicit-def: $vgpr44_vgpr45
                                        ; implicit-def: $vgpr40_vgpr41
                                        ; implicit-def: $vgpr32_vgpr33
	s_and_saveexec_b32 s4, vcc_lo
	s_cbranch_execz .LBB0_5
; %bb.4:
	buffer_load_dword v0, off, s[56:59], 0 offset:4 ; 4-byte Folded Reload
	s_waitcnt vmcnt(0)
	v_lshl_add_u32 v0, v0, 4, v255
	ds_read_b128 v[36:39], v0
	ds_read_b128 v[52:55], v0 offset:144
	ds_read_b128 v[56:59], v0 offset:288
	ds_read_b128 v[60:63], v0 offset:432
	ds_read_b128 v[64:67], v0 offset:576
	ds_read_b128 v[68:71], v0 offset:720
	ds_read_b128 v[72:75], v0 offset:864
	ds_read_b128 v[76:79], v0 offset:1008
	ds_read_b128 v[84:87], v0 offset:1152
	ds_read_b128 v[88:91], v0 offset:1296
	ds_read_b128 v[92:95], v0 offset:1440
	ds_read_b128 v[96:99], v0 offset:1584
	ds_read_b128 v[80:83], v0 offset:1728
	ds_read_b128 v[48:51], v0 offset:1872
	ds_read_b128 v[44:47], v0 offset:2016
	ds_read_b128 v[40:43], v0 offset:2160
	ds_read_b128 v[32:35], v0 offset:2304
.LBB0_5:
	s_or_b32 exec_lo, exec_lo, s4
	s_waitcnt lgkmcnt(0)
	v_add_f64 v[28:29], v[54:55], -v[34:35]
	v_add_f64 v[30:31], v[52:53], -v[32:33]
	s_mov_b32 s24, 0x5d8e7cdc
	s_mov_b32 s25, 0xbfd71e95
	v_add_f64 v[110:111], v[58:59], -v[42:43]
	v_add_f64 v[104:105], v[56:57], -v[40:41]
	s_mov_b32 s28, 0x2a9d6da3
	s_mov_b32 s29, 0xbfe58eea
	;; [unrolled: 4-line block ×3, first 2 shown]
	v_add_f64 v[163:164], v[52:53], v[32:33]
	v_add_f64 v[167:168], v[54:55], v[34:35]
	s_mov_b32 s4, 0x370991
	s_mov_b32 s5, 0x3fedd6d0
	v_add_f64 v[100:101], v[56:57], v[40:41]
	v_add_f64 v[102:103], v[58:59], v[42:43]
	s_mov_b32 s6, 0x75d4884
	s_mov_b32 s7, 0x3fe7a5f6
	v_add_f64 v[117:118], v[62:63], v[46:47]
	s_mov_b32 s8, 0x2b2883cd
	v_mul_f64 v[0:1], v[28:29], s[24:25]
	v_mul_f64 v[2:3], v[30:31], s[24:25]
	s_mov_b32 s9, 0x3fdc86fa
	v_add_f64 v[237:238], v[66:67], -v[50:51]
	v_mul_f64 v[4:5], v[110:111], s[28:29]
	v_mul_f64 v[6:7], v[104:105], s[28:29]
	v_add_f64 v[239:240], v[64:65], -v[48:49]
	s_mov_b32 s30, 0xeb564b22
	v_mul_f64 v[8:9], v[114:115], s[38:39]
	v_mul_f64 v[12:13], v[121:122], s[38:39]
	s_mov_b32 s31, 0xbfefdd0d
	v_add_f64 v[133:134], v[66:67], v[50:51]
	s_mov_b32 s10, 0x3259b75e
	s_mov_b32 s11, 0x3fb79ee6
	v_add_f64 v[243:244], v[70:71], -v[82:83]
	s_mov_b32 s26, 0x923c349f
	s_mov_b32 s27, 0xbfeec746
	v_add_f64 v[108:109], v[60:61], v[44:45]
	v_add_f64 v[119:120], v[64:65], v[48:49]
	v_add_f64 v[106:107], v[68:69], v[80:81]
	s_mov_b32 s16, 0xc61f0d01
	s_mov_b32 s17, 0xbfd183b1
	buffer_store_dword v0, off, s[56:59], 0 offset:156 ; 4-byte Folded Spill
	buffer_store_dword v1, off, s[56:59], 0 offset:160 ; 4-byte Folded Spill
	;; [unrolled: 1-line block ×12, first 2 shown]
	v_mul_f64 v[10:11], v[237:238], s[30:31]
	buffer_store_dword v10, off, s[56:59], 0 offset:52 ; 4-byte Folded Spill
	buffer_store_dword v11, off, s[56:59], 0 offset:56 ; 4-byte Folded Spill
	v_add_f64 v[249:250], v[68:69], -v[80:81]
	v_add_f64 v[153:154], v[70:71], v[82:83]
	v_add_f64 v[127:128], v[74:75], -v[98:99]
	s_mov_b32 s34, 0x6c9a05f6
	s_mov_b32 s35, 0xbfe9895b
	v_add_f64 v[112:113], v[72:73], v[96:97]
	s_mov_b32 s18, 0x6ed5f1bb
	s_mov_b32 s19, 0xbfe348c8
	v_add_f64 v[131:132], v[72:73], -v[96:97]
	v_add_f64 v[129:130], v[74:75], v[98:99]
	v_add_f64 v[135:136], v[78:79], -v[94:95]
	s_mov_b32 s36, 0x4363dd80
	s_mov_b32 s37, 0xbfe0d888
	v_add_f64 v[139:140], v[76:77], v[92:93]
	s_mov_b32 s20, 0x910ea3b9
	s_mov_b32 s21, 0xbfeb34fa
	;; [unrolled: 8-line block ×3, first 2 shown]
	v_add_f64 v[145:146], v[84:85], -v[88:89]
	v_add_f64 v[155:156], v[86:87], v[90:91]
	s_mov_b32 s51, 0x3fe0d888
	s_mov_b32 s50, s36
	;; [unrolled: 1-line block ×8, first 2 shown]
	v_mul_f64 v[151:152], v[28:29], s[38:39]
	v_mul_f64 v[157:158], v[30:31], s[38:39]
	s_mov_b32 s47, 0x3fc7851a
	s_mov_b32 s46, s40
	v_mul_f64 v[14:15], v[110:111], s[40:41]
	v_mul_f64 v[16:17], v[104:105], s[40:41]
	;; [unrolled: 1-line block ×4, first 2 shown]
	s_mov_b32 s53, 0x3fe9895b
	s_mov_b32 s52, s34
	v_mul_f64 v[18:19], v[110:111], s[50:51]
	v_mul_f64 v[20:21], v[104:105], s[50:51]
	;; [unrolled: 1-line block ×28, first 2 shown]
	v_fma_f64 v[22:23], v[100:101], s[16:17], v[159:160]
	v_mul_f64 v[217:218], v[249:250], s[24:25]
	v_fma_f64 v[24:25], v[102:103], s[16:17], -v[169:170]
	v_mul_f64 v[211:212], v[127:128], s[40:41]
	v_mul_f64 v[221:222], v[131:132], s[40:41]
	;; [unrolled: 1-line block ×10, first 2 shown]
	v_fma_f64 v[26:27], v[100:101], s[8:9], v[195:196]
	v_fma_f64 v[123:124], v[102:103], s[8:9], -v[205:206]
	v_fma_f64 v[0:1], v[163:164], s[4:5], v[0:1]
	v_fma_f64 v[2:3], v[167:168], s[4:5], -v[2:3]
	;; [unrolled: 2-line block ×3, first 2 shown]
	v_fma_f64 v[8:9], v[108:109], s[8:9], v[8:9]
	v_add_f64 v[0:1], v[36:37], v[0:1]
	v_add_f64 v[2:3], v[38:39], v[2:3]
	;; [unrolled: 1-line block ×3, first 2 shown]
	v_fma_f64 v[4:5], v[117:118], s[8:9], -v[12:13]
	v_add_f64 v[2:3], v[6:7], v[2:3]
	v_fma_f64 v[6:7], v[119:120], s[10:11], v[10:11]
	v_mul_f64 v[10:11], v[110:111], s[34:35]
	v_mul_f64 v[12:13], v[104:105], s[34:35]
	v_add_f64 v[0:1], v[8:9], v[0:1]
	v_mul_f64 v[8:9], v[104:105], s[30:31]
	v_add_f64 v[2:3], v[4:5], v[2:3]
	v_mul_f64 v[4:5], v[239:240], s[30:31]
	v_fma_f64 v[104:105], v[102:103], s[4:5], -v[235:236]
	buffer_store_dword v4, off, s[56:59], 0 offset:84 ; 4-byte Folded Spill
	buffer_store_dword v5, off, s[56:59], 0 offset:88 ; 4-byte Folded Spill
	v_add_f64 v[0:1], v[6:7], v[0:1]
	v_mul_f64 v[6:7], v[110:111], s[30:31]
	v_fma_f64 v[110:111], v[100:101], s[4:5], v[231:232]
	v_fma_f64 v[4:5], v[133:134], s[10:11], -v[4:5]
	v_add_f64 v[2:3], v[4:5], v[2:3]
	v_mul_f64 v[4:5], v[243:244], s[26:27]
	buffer_store_dword v4, off, s[56:59], 0 offset:20 ; 4-byte Folded Spill
	buffer_store_dword v5, off, s[56:59], 0 offset:24 ; 4-byte Folded Spill
	v_fma_f64 v[4:5], v[106:107], s[16:17], v[4:5]
	v_add_f64 v[0:1], v[4:5], v[0:1]
	v_mul_f64 v[4:5], v[249:250], s[26:27]
	buffer_store_dword v4, off, s[56:59], 0 offset:116 ; 4-byte Folded Spill
	buffer_store_dword v5, off, s[56:59], 0 offset:120 ; 4-byte Folded Spill
	v_fma_f64 v[4:5], v[153:154], s[16:17], -v[4:5]
	v_add_f64 v[2:3], v[4:5], v[2:3]
	v_mul_f64 v[4:5], v[127:128], s[34:35]
	buffer_store_dword v4, off, s[56:59], 0 offset:28 ; 4-byte Folded Spill
	buffer_store_dword v5, off, s[56:59], 0 offset:32 ; 4-byte Folded Spill
	v_fma_f64 v[4:5], v[112:113], s[18:19], v[4:5]
	v_add_f64 v[0:1], v[4:5], v[0:1]
	v_mul_f64 v[4:5], v[131:132], s[34:35]
	buffer_store_dword v4, off, s[56:59], 0 offset:68 ; 4-byte Folded Spill
	buffer_store_dword v5, off, s[56:59], 0 offset:72 ; 4-byte Folded Spill
	;; [unrolled: 10-line block ×4, first 2 shown]
	v_fma_f64 v[4:5], v[155:156], s[22:23], -v[4:5]
	v_add_f64 v[2:3], v[4:5], v[2:3]
	v_mul_f64 v[4:5], v[28:29], s[28:29]
	buffer_store_dword v4, off, s[56:59], 0 offset:532 ; 4-byte Folded Spill
	buffer_store_dword v5, off, s[56:59], 0 offset:536 ; 4-byte Folded Spill
	buffer_store_dword v6, off, s[56:59], 0 offset:276 ; 4-byte Folded Spill
	buffer_store_dword v7, off, s[56:59], 0 offset:280 ; 4-byte Folded Spill
	v_fma_f64 v[4:5], v[163:164], s[6:7], v[4:5]
	v_fma_f64 v[6:7], v[100:101], s[10:11], v[6:7]
	v_add_f64 v[4:5], v[36:37], v[4:5]
	v_add_f64 v[4:5], v[6:7], v[4:5]
	v_mul_f64 v[6:7], v[30:31], s[28:29]
	v_fma_f64 v[30:31], v[167:168], s[22:23], -v[125:126]
	buffer_store_dword v6, off, s[56:59], 0 offset:540 ; 4-byte Folded Spill
	buffer_store_dword v7, off, s[56:59], 0 offset:544 ; 4-byte Folded Spill
	;; [unrolled: 1-line block ×4, first 2 shown]
	v_add_f64 v[30:31], v[38:39], v[30:31]
	v_add_f64 v[30:31], v[104:105], v[30:31]
	v_fma_f64 v[104:105], v[108:109], s[20:21], v[233:234]
	v_fma_f64 v[6:7], v[167:168], s[6:7], -v[6:7]
	v_fma_f64 v[8:9], v[102:103], s[10:11], -v[8:9]
	v_add_f64 v[6:7], v[38:39], v[6:7]
	v_add_f64 v[6:7], v[8:9], v[6:7]
	v_mul_f64 v[8:9], v[114:115], s[34:35]
	buffer_store_dword v8, off, s[56:59], 0 offset:284 ; 4-byte Folded Spill
	buffer_store_dword v9, off, s[56:59], 0 offset:288 ; 4-byte Folded Spill
	v_fma_f64 v[8:9], v[108:109], s[18:19], v[8:9]
	v_add_f64 v[4:5], v[8:9], v[4:5]
	v_mul_f64 v[8:9], v[121:122], s[34:35]
	buffer_store_dword v8, off, s[56:59], 0 offset:308 ; 4-byte Folded Spill
	buffer_store_dword v9, off, s[56:59], 0 offset:312 ; 4-byte Folded Spill
	v_fma_f64 v[8:9], v[117:118], s[18:19], -v[8:9]
	v_add_f64 v[6:7], v[8:9], v[6:7]
	v_mul_f64 v[8:9], v[237:238], s[40:41]
	buffer_store_dword v8, off, s[56:59], 0 offset:260 ; 4-byte Folded Spill
	buffer_store_dword v9, off, s[56:59], 0 offset:264 ; 4-byte Folded Spill
	v_fma_f64 v[8:9], v[119:120], s[22:23], v[8:9]
	v_add_f64 v[4:5], v[8:9], v[4:5]
	v_mul_f64 v[8:9], v[239:240], s[40:41]
	buffer_store_dword v8, off, s[56:59], 0 offset:300 ; 4-byte Folded Spill
	buffer_store_dword v9, off, s[56:59], 0 offset:304 ; 4-byte Folded Spill
	v_fma_f64 v[8:9], v[133:134], s[22:23], -v[8:9]
	v_add_f64 v[6:7], v[8:9], v[6:7]
	v_mul_f64 v[8:9], v[243:244], s[50:51]
	buffer_store_dword v8, off, s[56:59], 0 offset:244 ; 4-byte Folded Spill
	buffer_store_dword v9, off, s[56:59], 0 offset:248 ; 4-byte Folded Spill
	v_fma_f64 v[8:9], v[106:107], s[20:21], v[8:9]
	v_add_f64 v[4:5], v[8:9], v[4:5]
	v_mul_f64 v[8:9], v[249:250], s[50:51]
	buffer_store_dword v8, off, s[56:59], 0 offset:292 ; 4-byte Folded Spill
	buffer_store_dword v9, off, s[56:59], 0 offset:296 ; 4-byte Folded Spill
	v_fma_f64 v[8:9], v[153:154], s[20:21], -v[8:9]
	v_add_f64 v[6:7], v[8:9], v[6:7]
	v_mul_f64 v[8:9], v[127:128], s[48:49]
	buffer_store_dword v8, off, s[56:59], 0 offset:180 ; 4-byte Folded Spill
	buffer_store_dword v9, off, s[56:59], 0 offset:184 ; 4-byte Folded Spill
	v_fma_f64 v[8:9], v[112:113], s[16:17], v[8:9]
	v_add_f64 v[4:5], v[8:9], v[4:5]
	v_mul_f64 v[8:9], v[131:132], s[48:49]
	buffer_store_dword v8, off, s[56:59], 0 offset:188 ; 4-byte Folded Spill
	buffer_store_dword v9, off, s[56:59], 0 offset:192 ; 4-byte Folded Spill
	v_fma_f64 v[8:9], v[129:130], s[16:17], -v[8:9]
	v_add_f64 v[6:7], v[8:9], v[6:7]
	v_mul_f64 v[8:9], v[135:136], s[42:43]
	buffer_store_dword v8, off, s[56:59], 0 offset:148 ; 4-byte Folded Spill
	buffer_store_dword v9, off, s[56:59], 0 offset:152 ; 4-byte Folded Spill
	v_fma_f64 v[8:9], v[139:140], s[8:9], v[8:9]
	v_add_f64 v[4:5], v[8:9], v[4:5]
	v_mul_f64 v[8:9], v[137:138], s[42:43]
	buffer_store_dword v8, off, s[56:59], 0 offset:164 ; 4-byte Folded Spill
	buffer_store_dword v9, off, s[56:59], 0 offset:168 ; 4-byte Folded Spill
	v_fma_f64 v[8:9], v[143:144], s[8:9], -v[8:9]
	v_add_f64 v[6:7], v[8:9], v[6:7]
	v_mul_f64 v[8:9], v[141:142], s[44:45]
	buffer_store_dword v8, off, s[56:59], 0 offset:132 ; 4-byte Folded Spill
	buffer_store_dword v9, off, s[56:59], 0 offset:136 ; 4-byte Folded Spill
	v_fma_f64 v[8:9], v[147:148], s[4:5], v[8:9]
	v_add_f64 v[4:5], v[8:9], v[4:5]
	v_mul_f64 v[8:9], v[145:146], s[44:45]
	buffer_store_dword v8, off, s[56:59], 0 offset:140 ; 4-byte Folded Spill
	buffer_store_dword v9, off, s[56:59], 0 offset:144 ; 4-byte Folded Spill
	;; [unrolled: 1-line block ×6, first 2 shown]
	v_fma_f64 v[8:9], v[155:156], s[4:5], -v[8:9]
	v_fma_f64 v[10:11], v[100:101], s[18:19], v[10:11]
	v_fma_f64 v[12:13], v[102:103], s[18:19], -v[12:13]
	v_add_f64 v[6:7], v[8:9], v[6:7]
	v_fma_f64 v[8:9], v[163:164], s[8:9], v[151:152]
	v_add_f64 v[8:9], v[36:37], v[8:9]
	v_add_f64 v[8:9], v[10:11], v[8:9]
	v_fma_f64 v[10:11], v[167:168], s[8:9], -v[157:158]
	v_add_f64 v[10:11], v[38:39], v[10:11]
	v_add_f64 v[10:11], v[12:13], v[10:11]
	v_mul_f64 v[12:13], v[114:115], s[46:47]
	buffer_store_dword v12, off, s[56:59], 0 offset:396 ; 4-byte Folded Spill
	buffer_store_dword v13, off, s[56:59], 0 offset:400 ; 4-byte Folded Spill
	v_fma_f64 v[12:13], v[108:109], s[22:23], v[12:13]
	v_add_f64 v[8:9], v[12:13], v[8:9]
	v_mul_f64 v[12:13], v[121:122], s[46:47]
	buffer_store_dword v12, off, s[56:59], 0 offset:428 ; 4-byte Folded Spill
	buffer_store_dword v13, off, s[56:59], 0 offset:432 ; 4-byte Folded Spill
	s_mov_b32 s47, 0x3fe58eea
	s_mov_b32 s46, s28
	v_mul_f64 v[215:216], v[135:136], s[46:47]
	v_mul_f64 v[223:224], v[137:138], s[46:47]
	;; [unrolled: 1-line block ×3, first 2 shown]
	v_fma_f64 v[12:13], v[117:118], s[22:23], -v[12:13]
	v_add_f64 v[10:11], v[12:13], v[10:11]
	v_mul_f64 v[12:13], v[237:238], s[48:49]
	buffer_store_dword v12, off, s[56:59], 0 offset:380 ; 4-byte Folded Spill
	buffer_store_dword v13, off, s[56:59], 0 offset:384 ; 4-byte Folded Spill
	v_fma_f64 v[12:13], v[119:120], s[16:17], v[12:13]
	v_add_f64 v[8:9], v[12:13], v[8:9]
	v_mul_f64 v[12:13], v[239:240], s[48:49]
	buffer_store_dword v12, off, s[56:59], 0 offset:436 ; 4-byte Folded Spill
	buffer_store_dword v13, off, s[56:59], 0 offset:440 ; 4-byte Folded Spill
	v_fma_f64 v[12:13], v[133:134], s[16:17], -v[12:13]
	v_add_f64 v[10:11], v[12:13], v[10:11]
	v_mul_f64 v[12:13], v[243:244], s[46:47]
	buffer_store_dword v12, off, s[56:59], 0 offset:372 ; 4-byte Folded Spill
	buffer_store_dword v13, off, s[56:59], 0 offset:376 ; 4-byte Folded Spill
	v_fma_f64 v[12:13], v[106:107], s[6:7], v[12:13]
	v_add_f64 v[8:9], v[12:13], v[8:9]
	v_mul_f64 v[12:13], v[249:250], s[46:47]
	buffer_store_dword v12, off, s[56:59], 0 offset:452 ; 4-byte Folded Spill
	buffer_store_dword v13, off, s[56:59], 0 offset:456 ; 4-byte Folded Spill
	;; [unrolled: 10-line block ×5, first 2 shown]
	buffer_store_dword v14, off, s[56:59], 0 offset:468 ; 4-byte Folded Spill
	buffer_store_dword v15, off, s[56:59], 0 offset:472 ; 4-byte Folded Spill
	;; [unrolled: 1-line block ×4, first 2 shown]
	v_fma_f64 v[12:13], v[155:156], s[20:21], -v[12:13]
	v_fma_f64 v[14:15], v[100:101], s[22:23], v[14:15]
	v_fma_f64 v[16:17], v[102:103], s[22:23], -v[16:17]
	v_add_f64 v[10:11], v[12:13], v[10:11]
	v_fma_f64 v[12:13], v[163:164], s[10:11], v[175:176]
	v_add_f64 v[12:13], v[36:37], v[12:13]
	v_add_f64 v[12:13], v[14:15], v[12:13]
	v_fma_f64 v[14:15], v[167:168], s[10:11], -v[181:182]
	v_add_f64 v[14:15], v[38:39], v[14:15]
	v_add_f64 v[14:15], v[16:17], v[14:15]
	v_mul_f64 v[16:17], v[114:115], s[48:49]
	buffer_store_dword v16, off, s[56:59], 0 offset:476 ; 4-byte Folded Spill
	buffer_store_dword v17, off, s[56:59], 0 offset:480 ; 4-byte Folded Spill
	v_fma_f64 v[16:17], v[108:109], s[16:17], v[16:17]
	v_add_f64 v[12:13], v[16:17], v[12:13]
	v_mul_f64 v[16:17], v[121:122], s[48:49]
	buffer_store_dword v16, off, s[56:59], 0 offset:500 ; 4-byte Folded Spill
	buffer_store_dword v17, off, s[56:59], 0 offset:504 ; 4-byte Folded Spill
	v_fma_f64 v[16:17], v[117:118], s[16:17], -v[16:17]
	v_add_f64 v[14:15], v[16:17], v[14:15]
	v_mul_f64 v[16:17], v[237:238], s[44:45]
	buffer_store_dword v16, off, s[56:59], 0 offset:492 ; 4-byte Folded Spill
	buffer_store_dword v17, off, s[56:59], 0 offset:496 ; 4-byte Folded Spill
	v_fma_f64 v[16:17], v[119:120], s[4:5], v[16:17]
	v_add_f64 v[12:13], v[16:17], v[12:13]
	v_mul_f64 v[16:17], v[239:240], s[44:45]
	buffer_store_dword v16, off, s[56:59], 0 offset:516 ; 4-byte Folded Spill
	buffer_store_dword v17, off, s[56:59], 0 offset:520 ; 4-byte Folded Spill
	v_fma_f64 v[16:17], v[133:134], s[4:5], -v[16:17]
	;; [unrolled: 10-line block ×5, first 2 shown]
	v_add_f64 v[14:15], v[16:17], v[14:15]
	v_mul_f64 v[16:17], v[141:142], s[46:47]
	buffer_store_dword v16, off, s[56:59], 0 offset:252 ; 4-byte Folded Spill
	buffer_store_dword v17, off, s[56:59], 0 offset:256 ; 4-byte Folded Spill
	v_fma_f64 v[16:17], v[147:148], s[6:7], v[16:17]
	v_add_f64 v[12:13], v[16:17], v[12:13]
	v_mul_f64 v[16:17], v[145:146], s[46:47]
	buffer_store_dword v16, off, s[56:59], 0 offset:268 ; 4-byte Folded Spill
	buffer_store_dword v17, off, s[56:59], 0 offset:272 ; 4-byte Folded Spill
	;; [unrolled: 1-line block ×6, first 2 shown]
	v_fma_f64 v[16:17], v[155:156], s[6:7], -v[16:17]
	v_fma_f64 v[18:19], v[100:101], s[20:21], v[18:19]
	v_fma_f64 v[20:21], v[102:103], s[20:21], -v[20:21]
	v_add_f64 v[14:15], v[16:17], v[14:15]
	v_fma_f64 v[16:17], v[163:164], s[16:17], v[197:198]
	v_add_f64 v[16:17], v[36:37], v[16:17]
	v_add_f64 v[16:17], v[18:19], v[16:17]
	v_fma_f64 v[18:19], v[167:168], s[16:17], -v[201:202]
	v_add_f64 v[18:19], v[38:39], v[18:19]
	v_add_f64 v[18:19], v[20:21], v[18:19]
	v_mul_f64 v[20:21], v[114:115], s[46:47]
	buffer_store_dword v20, off, s[56:59], 0 offset:556 ; 4-byte Folded Spill
	buffer_store_dword v21, off, s[56:59], 0 offset:560 ; 4-byte Folded Spill
	v_mul_f64 v[114:115], v[137:138], s[26:27]
	v_fma_f64 v[20:21], v[108:109], s[6:7], v[20:21]
	v_add_f64 v[16:17], v[20:21], v[16:17]
	v_mul_f64 v[20:21], v[121:122], s[46:47]
	buffer_store_dword v20, off, s[56:59], 0 offset:580 ; 4-byte Folded Spill
	buffer_store_dword v21, off, s[56:59], 0 offset:584 ; 4-byte Folded Spill
	v_fma_f64 v[20:21], v[117:118], s[6:7], -v[20:21]
	v_add_f64 v[18:19], v[20:21], v[18:19]
	v_mul_f64 v[20:21], v[237:238], s[38:39]
	buffer_store_dword v20, off, s[56:59], 0 offset:572 ; 4-byte Folded Spill
	buffer_store_dword v21, off, s[56:59], 0 offset:576 ; 4-byte Folded Spill
	v_mul_f64 v[237:238], v[237:238], s[46:47]
	v_fma_f64 v[20:21], v[119:120], s[8:9], v[20:21]
	v_add_f64 v[16:17], v[20:21], v[16:17]
	v_mul_f64 v[20:21], v[239:240], s[38:39]
	buffer_store_dword v20, off, s[56:59], 0 offset:596 ; 4-byte Folded Spill
	buffer_store_dword v21, off, s[56:59], 0 offset:600 ; 4-byte Folded Spill
	s_mov_b32 s39, 0x3fefdd0d
	s_mov_b32 s38, s30
	v_mul_f64 v[239:240], v[243:244], s[34:35]
	v_mul_f64 v[171:172], v[243:244], s[38:39]
	;; [unrolled: 1-line block ×5, first 2 shown]
	v_fma_f64 v[20:21], v[133:134], s[8:9], -v[20:21]
	v_add_f64 v[18:19], v[20:21], v[18:19]
	v_mul_f64 v[20:21], v[243:244], s[40:41]
	buffer_store_dword v20, off, s[56:59], 0 offset:588 ; 4-byte Folded Spill
	buffer_store_dword v21, off, s[56:59], 0 offset:592 ; 4-byte Folded Spill
	v_mul_f64 v[243:244], v[127:128], s[42:43]
	v_fma_f64 v[20:21], v[106:107], s[22:23], v[20:21]
	v_add_f64 v[16:17], v[20:21], v[16:17]
	v_fma_f64 v[20:21], v[153:154], s[22:23], -v[149:150]
	v_add_f64 v[18:19], v[20:21], v[18:19]
	v_mul_f64 v[20:21], v[127:128], s[38:39]
	buffer_store_dword v20, off, s[56:59], 0 offset:444 ; 4-byte Folded Spill
	buffer_store_dword v21, off, s[56:59], 0 offset:448 ; 4-byte Folded Spill
	v_fma_f64 v[20:21], v[112:113], s[10:11], v[20:21]
	v_add_f64 v[16:17], v[20:21], v[16:17]
	v_mul_f64 v[20:21], v[131:132], s[38:39]
	buffer_store_dword v20, off, s[56:59], 0 offset:460 ; 4-byte Folded Spill
	buffer_store_dword v21, off, s[56:59], 0 offset:464 ; 4-byte Folded Spill
	v_fma_f64 v[20:21], v[129:130], s[10:11], -v[20:21]
	v_add_f64 v[18:19], v[20:21], v[18:19]
	v_mul_f64 v[20:21], v[135:136], s[24:25]
	buffer_store_dword v20, off, s[56:59], 0 offset:404 ; 4-byte Folded Spill
	buffer_store_dword v21, off, s[56:59], 0 offset:408 ; 4-byte Folded Spill
	v_fma_f64 v[20:21], v[139:140], s[4:5], v[20:21]
	v_add_f64 v[16:17], v[20:21], v[16:17]
	v_mul_f64 v[20:21], v[137:138], s[24:25]
	buffer_store_dword v20, off, s[56:59], 0 offset:412 ; 4-byte Folded Spill
	buffer_store_dword v21, off, s[56:59], 0 offset:416 ; 4-byte Folded Spill
	;; [unrolled: 10-line block ×3, first 2 shown]
	s_waitcnt_vscnt null, 0x0
	s_barrier
	buffer_gl0_inv
	v_fma_f64 v[20:21], v[155:156], s[18:19], -v[20:21]
	v_add_f64 v[18:19], v[20:21], v[18:19]
	v_fma_f64 v[20:21], v[163:164], s[18:19], v[225:226]
	v_add_f64 v[20:21], v[36:37], v[20:21]
	v_add_f64 v[20:21], v[22:23], v[20:21]
	v_fma_f64 v[22:23], v[167:168], s[18:19], -v[229:230]
	v_add_f64 v[22:23], v[38:39], v[22:23]
	v_add_f64 v[22:23], v[24:25], v[22:23]
	v_fma_f64 v[24:25], v[108:109], s[4:5], v[161:162]
	v_add_f64 v[20:21], v[24:25], v[20:21]
	v_fma_f64 v[24:25], v[117:118], s[4:5], -v[173:174]
	v_add_f64 v[22:23], v[24:25], v[22:23]
	v_fma_f64 v[24:25], v[119:120], s[20:21], v[165:166]
	v_add_f64 v[20:21], v[24:25], v[20:21]
	v_fma_f64 v[24:25], v[133:134], s[20:21], -v[179:180]
	;; [unrolled: 4-line block ×6, first 2 shown]
	v_add_f64 v[22:23], v[24:25], v[22:23]
	v_fma_f64 v[24:25], v[163:164], s[20:21], v[247:248]
	v_add_f64 v[24:25], v[36:37], v[24:25]
	v_add_f64 v[24:25], v[26:27], v[24:25]
	v_fma_f64 v[26:27], v[167:168], s[20:21], -v[253:254]
	v_add_f64 v[26:27], v[38:39], v[26:27]
	v_add_f64 v[26:27], v[123:124], v[26:27]
	v_fma_f64 v[123:124], v[108:109], s[10:11], v[199:200]
	v_add_f64 v[24:25], v[123:124], v[24:25]
	v_fma_f64 v[123:124], v[117:118], s[10:11], -v[209:210]
	v_add_f64 v[26:27], v[123:124], v[26:27]
	v_fma_f64 v[123:124], v[119:120], s[18:19], v[203:204]
	v_add_f64 v[24:25], v[123:124], v[24:25]
	v_fma_f64 v[123:124], v[133:134], s[18:19], -v[213:214]
	;; [unrolled: 4-line block ×6, first 2 shown]
	v_add_f64 v[26:27], v[123:124], v[26:27]
	v_mul_f64 v[123:124], v[28:29], s[40:41]
	v_fma_f64 v[28:29], v[163:164], s[22:23], v[123:124]
	v_add_f64 v[28:29], v[36:37], v[28:29]
	v_add_f64 v[28:29], v[110:111], v[28:29]
	v_mul_f64 v[110:111], v[131:132], s[42:43]
	v_add_f64 v[28:29], v[104:105], v[28:29]
	v_fma_f64 v[104:105], v[117:118], s[20:21], -v[241:242]
	v_add_f64 v[30:31], v[104:105], v[30:31]
	v_fma_f64 v[104:105], v[119:120], s[6:7], v[237:238]
	v_add_f64 v[28:29], v[104:105], v[28:29]
	v_fma_f64 v[104:105], v[133:134], s[6:7], -v[245:246]
	v_add_f64 v[30:31], v[104:105], v[30:31]
	v_fma_f64 v[104:105], v[106:107], s[18:19], v[239:240]
	;; [unrolled: 4-line block ×4, first 2 shown]
	v_add_f64 v[28:29], v[104:105], v[28:29]
	v_fma_f64 v[104:105], v[143:144], s[16:17], -v[114:115]
	v_add_f64 v[30:31], v[104:105], v[30:31]
	v_mul_f64 v[104:105], v[141:142], s[38:39]
	v_fma_f64 v[127:128], v[147:148], s[10:11], v[104:105]
	v_add_f64 v[28:29], v[127:128], v[28:29]
	v_fma_f64 v[127:128], v[155:156], s[10:11], -v[121:122]
	v_add_f64 v[30:31], v[127:128], v[30:31]
	buffer_load_dword v127, off, s[56:59], 0 ; 4-byte Folded Reload
	s_waitcnt vmcnt(0)
	v_mul_lo_u16 v127, v127, 17
	buffer_store_dword v127, off, s[56:59], 0 offset:12 ; 4-byte Folded Spill
	s_and_saveexec_b32 s24, vcc_lo
	s_cbranch_execz .LBB0_7
; %bb.6:
	v_add_f64 v[54:55], v[38:39], v[54:55]
	v_add_f64 v[52:53], v[36:37], v[52:53]
	v_mul_f64 v[145:146], v[119:120], s[18:19]
	v_mul_f64 v[127:128], v[102:103], s[8:9]
	;; [unrolled: 1-line block ×6, first 2 shown]
	v_add_f64 v[54:55], v[54:55], v[58:59]
	v_add_f64 v[52:53], v[52:53], v[56:57]
	v_mul_f64 v[56:57], v[167:168], s[18:19]
	v_mul_f64 v[58:59], v[163:164], s[18:19]
	v_add_f64 v[145:146], v[145:146], -v[203:204]
	v_add_f64 v[127:128], v[205:206], v[127:128]
	v_add_f64 v[141:142], v[141:142], -v[207:208]
	v_add_f64 v[137:138], v[137:138], -v[211:212]
	;; [unrolled: 1-line block ×4, first 2 shown]
	v_add_f64 v[54:55], v[54:55], v[62:63]
	v_add_f64 v[52:53], v[52:53], v[60:61]
	v_mul_f64 v[60:61], v[167:168], s[16:17]
	v_mul_f64 v[62:63], v[163:164], s[16:17]
	v_add_f64 v[56:57], v[229:230], v[56:57]
	v_add_f64 v[58:59], v[58:59], -v[225:226]
	v_add_f64 v[54:55], v[54:55], v[66:67]
	v_add_f64 v[52:53], v[52:53], v[64:65]
	v_mul_f64 v[66:67], v[163:164], s[10:11]
	v_mul_f64 v[64:65], v[167:168], s[10:11]
	v_add_f64 v[62:63], v[62:63], -v[197:198]
	v_add_f64 v[60:61], v[201:202], v[60:61]
	v_add_f64 v[56:57], v[38:39], v[56:57]
	;; [unrolled: 1-line block ×5, first 2 shown]
	v_add_f64 v[66:67], v[66:67], -v[175:176]
	v_mul_f64 v[175:176], v[129:130], s[6:7]
	v_mul_f64 v[68:69], v[167:168], s[8:9]
	;; [unrolled: 1-line block ×3, first 2 shown]
	v_add_f64 v[64:65], v[181:182], v[64:65]
	v_mul_f64 v[181:182], v[153:154], s[10:11]
	v_add_f64 v[60:61], v[38:39], v[60:61]
	v_add_f64 v[62:63], v[36:37], v[62:63]
	;; [unrolled: 1-line block ×4, first 2 shown]
	s_clause 0x1
	buffer_load_dword v74, off, s[56:59], 0 offset:540
	buffer_load_dword v75, off, s[56:59], 0 offset:544
	v_mul_f64 v[72:73], v[167:168], s[6:7]
	v_add_f64 v[175:176], v[189:190], v[175:176]
	v_add_f64 v[68:69], v[157:158], v[68:69]
	v_mul_f64 v[157:158], v[100:101], s[8:9]
	v_add_f64 v[181:182], v[185:186], v[181:182]
	v_mul_f64 v[185:186], v[133:134], s[20:21]
	v_add_f64 v[70:71], v[70:71], -v[151:152]
	v_mul_f64 v[151:152], v[108:109], s[10:11]
	v_add_f64 v[64:65], v[38:39], v[64:65]
	v_add_f64 v[66:67], v[36:37], v[66:67]
	;; [unrolled: 1-line block ×4, first 2 shown]
	s_clause 0x3
	buffer_load_dword v76, off, s[56:59], 0 offset:532
	buffer_load_dword v77, off, s[56:59], 0 offset:536
	;; [unrolled: 1-line block ×4, first 2 shown]
	v_add_f64 v[68:69], v[38:39], v[68:69]
	v_add_f64 v[157:158], v[157:158], -v[195:196]
	v_add_f64 v[179:180], v[179:180], v[185:186]
	v_mul_f64 v[185:186], v[117:118], s[4:5]
	v_add_f64 v[151:152], v[151:152], -v[199:200]
	v_add_f64 v[70:71], v[36:37], v[70:71]
	v_add_f64 v[54:55], v[54:55], v[86:87]
	;; [unrolled: 1-line block ×3, first 2 shown]
	v_mul_f64 v[86:87], v[147:148], s[10:11]
	v_mul_f64 v[84:85], v[102:103], s[4:5]
	v_add_f64 v[173:174], v[173:174], v[185:186]
	v_mul_f64 v[185:186], v[102:103], s[16:17]
	v_add_f64 v[54:55], v[54:55], v[90:91]
	v_add_f64 v[52:53], v[52:53], v[88:89]
	v_add_f64 v[86:87], v[86:87], -v[104:105]
	v_mul_f64 v[104:105], v[155:156], s[16:17]
	v_add_f64 v[84:85], v[235:236], v[84:85]
	v_mul_f64 v[90:91], v[112:113], s[8:9]
	v_mul_f64 v[88:89], v[139:140], s[16:17]
	v_add_f64 v[169:170], v[169:170], v[185:186]
	v_mul_f64 v[185:186], v[147:148], s[8:9]
	v_add_f64 v[54:55], v[54:55], v[94:95]
	v_add_f64 v[52:53], v[52:53], v[92:93]
	v_mul_f64 v[94:95], v[119:120], s[6:7]
	v_add_f64 v[104:105], v[227:228], v[104:105]
	v_mul_f64 v[92:93], v[106:107], s[18:19]
	v_add_f64 v[90:91], v[90:91], -v[243:244]
	v_add_f64 v[88:89], v[88:89], -v[249:250]
	v_add_f64 v[56:57], v[169:170], v[56:57]
	v_add_f64 v[185:186], v[185:186], -v[187:188]
	v_mul_f64 v[187:188], v[139:140], s[22:23]
	v_add_f64 v[54:55], v[54:55], v[98:99]
	v_add_f64 v[52:53], v[52:53], v[96:97]
	v_mul_f64 v[98:99], v[100:101], s[4:5]
	v_mul_f64 v[96:97], v[108:109], s[20:21]
	v_add_f64 v[94:95], v[94:95], -v[237:238]
	v_add_f64 v[92:93], v[92:93], -v[239:240]
	v_add_f64 v[56:57], v[173:174], v[56:57]
	v_add_f64 v[183:184], v[187:188], -v[183:184]
	v_mul_f64 v[187:188], v[112:113], s[6:7]
	v_add_f64 v[54:55], v[54:55], v[82:83]
	v_add_f64 v[52:53], v[52:53], v[80:81]
	s_clause 0x3
	buffer_load_dword v80, off, s[56:59], 0 offset:156
	buffer_load_dword v81, off, s[56:59], 0 offset:160
	;; [unrolled: 1-line block ×4, first 2 shown]
	v_add_f64 v[98:99], v[98:99], -v[231:232]
	v_add_f64 v[96:97], v[96:97], -v[233:234]
	v_mul_f64 v[82:83], v[117:118], s[20:21]
	v_add_f64 v[56:57], v[179:180], v[56:57]
	v_add_f64 v[177:178], v[187:188], -v[177:178]
	v_mul_f64 v[187:188], v[106:107], s[10:11]
	v_add_f64 v[50:51], v[54:55], v[50:51]
	v_add_f64 v[48:49], v[52:53], v[48:49]
	v_mul_f64 v[52:53], v[167:168], s[20:21]
	v_mul_f64 v[54:55], v[163:164], s[20:21]
	v_add_f64 v[82:83], v[241:242], v[82:83]
	v_add_f64 v[56:57], v[181:182], v[56:57]
	v_add_f64 v[171:172], v[187:188], -v[171:172]
	v_mul_f64 v[187:188], v[119:120], s[20:21]
	v_add_f64 v[46:47], v[50:51], v[46:47]
	v_add_f64 v[44:45], v[48:49], v[44:45]
	v_mul_f64 v[48:49], v[167:168], s[22:23]
	v_mul_f64 v[50:51], v[163:164], s[22:23]
	v_add_f64 v[52:53], v[253:254], v[52:53]
	v_add_f64 v[54:55], v[54:55], -v[247:248]
	v_add_f64 v[56:57], v[175:176], v[56:57]
	v_add_f64 v[165:166], v[187:188], -v[165:166]
	v_mul_f64 v[187:188], v[108:109], s[4:5]
	v_add_f64 v[42:43], v[46:47], v[42:43]
	v_add_f64 v[46:47], v[44:45], v[40:41]
	v_add_f64 v[48:49], v[125:126], v[48:49]
	v_mul_f64 v[125:126], v[117:118], s[10:11]
	v_add_f64 v[50:51], v[50:51], -v[123:124]
	v_mul_f64 v[123:124], v[133:134], s[18:19]
	v_mul_f64 v[40:41], v[155:156], s[10:11]
	;; [unrolled: 1-line block ×3, first 2 shown]
	v_add_f64 v[52:53], v[38:39], v[52:53]
	v_add_f64 v[54:55], v[36:37], v[54:55]
	v_add_f64 v[161:162], v[187:188], -v[161:162]
	v_mul_f64 v[187:188], v[100:101], s[16:17]
	v_add_f64 v[48:49], v[38:39], v[48:49]
	v_add_f64 v[125:126], v[209:210], v[125:126]
	;; [unrolled: 1-line block ×5, first 2 shown]
	v_mul_f64 v[121:122], v[153:154], s[4:5]
	v_add_f64 v[44:45], v[114:115], v[44:45]
	v_mul_f64 v[114:115], v[129:130], s[22:23]
	v_add_f64 v[52:53], v[127:128], v[52:53]
	v_add_f64 v[54:55], v[157:158], v[54:55]
	v_add_f64 v[159:160], v[187:188], -v[159:160]
	v_mul_f64 v[187:188], v[153:154], s[22:23]
	v_add_f64 v[48:49], v[84:85], v[48:49]
	v_mul_f64 v[84:85], v[153:154], s[20:21]
	v_add_f64 v[50:51], v[98:99], v[50:51]
	v_add_f64 v[121:122], v[217:218], v[121:122]
	;; [unrolled: 1-line block ×7, first 2 shown]
	v_mul_f64 v[187:188], v[133:134], s[8:9]
	v_add_f64 v[48:49], v[82:83], v[48:49]
	v_mul_f64 v[82:83], v[106:107], s[20:21]
	v_add_f64 v[50:51], v[96:97], v[50:51]
	v_add_f64 v[52:53], v[123:124], v[52:53]
	;; [unrolled: 1-line block ×11, first 2 shown]
	s_waitcnt vmcnt(8)
	v_add_f64 v[72:73], v[74:75], v[72:73]
	v_mul_f64 v[74:75], v[163:164], s[6:7]
	v_add_f64 v[58:59], v[171:172], v[58:59]
	v_add_f64 v[50:51], v[90:91], v[50:51]
	;; [unrolled: 1-line block ×3, first 2 shown]
	s_waitcnt vmcnt(6)
	v_add_f64 v[74:75], v[74:75], -v[76:77]
	v_mul_f64 v[76:77], v[167:168], s[4:5]
	v_mul_f64 v[167:168], v[143:144], s[22:23]
	v_add_f64 v[58:59], v[177:178], v[58:59]
	v_add_f64 v[88:89], v[88:89], v[50:51]
	;; [unrolled: 1-line block ×3, first 2 shown]
	s_waitcnt vmcnt(4)
	v_add_f64 v[76:77], v[78:79], v[76:77]
	v_mul_f64 v[78:79], v[163:164], s[4:5]
	v_mul_f64 v[163:164], v[155:156], s[8:9]
	v_add_f64 v[167:168], v[191:192], v[167:168]
	s_clause 0x1
	buffer_load_dword v191, off, s[56:59], 0 offset:580
	buffer_load_dword v192, off, s[56:59], 0 offset:584
	v_add_f64 v[38:39], v[38:39], v[76:77]
	v_mul_f64 v[76:77], v[129:130], s[8:9]
	v_add_f64 v[163:164], v[193:194], v[163:164]
	s_clause 0x1d
	buffer_load_dword v193, off, s[56:59], 0 offset:564
	buffer_load_dword v194, off, s[56:59], 0 offset:568
	;; [unrolled: 1-line block ×30, first 2 shown]
	v_add_f64 v[76:77], v[110:111], v[76:77]
	v_mul_f64 v[110:111], v[143:144], s[6:7]
	v_add_f64 v[110:111], v[223:224], v[110:111]
	s_clause 0x7
	buffer_load_dword v223, off, s[56:59], 0 offset:428
	buffer_load_dword v224, off, s[56:59], 0 offset:432
	;; [unrolled: 1-line block ×8, first 2 shown]
	s_waitcnt vmcnt(42)
	v_add_f64 v[78:79], v[78:79], -v[80:81]
	s_waitcnt vmcnt(40)
	v_add_f64 v[187:188], v[189:190], v[187:188]
	v_mul_f64 v[189:190], v[117:118], s[6:7]
	v_mul_f64 v[80:81], v[133:134], s[6:7]
	v_add_f64 v[36:37], v[36:37], v[78:79]
	v_mul_f64 v[78:79], v[153:154], s[18:19]
	v_add_f64 v[80:81], v[245:246], v[80:81]
	v_add_f64 v[78:79], v[251:252], v[78:79]
	;; [unrolled: 1-line block ×3, first 2 shown]
	v_mul_f64 v[80:81], v[153:154], s[16:17]
	v_add_f64 v[48:49], v[78:79], v[48:49]
	v_mul_f64 v[78:79], v[106:107], s[16:17]
	v_add_f64 v[48:49], v[76:77], v[48:49]
	;; [unrolled: 2-line block ×3, first 2 shown]
	v_add_f64 v[48:49], v[110:111], v[52:53]
	v_add_f64 v[52:53], v[167:168], v[56:57]
	v_mul_f64 v[56:57], v[112:113], s[10:11]
	s_waitcnt vmcnt(38)
	v_add_f64 v[189:190], v[191:192], v[189:190]
	v_mul_f64 v[191:192], v[102:103], s[20:21]
	s_waitcnt vmcnt(36)
	v_add_f64 v[191:192], v[193:194], v[191:192]
	v_mul_f64 v[193:194], v[106:107], s[22:23]
	v_add_f64 v[60:61], v[191:192], v[60:61]
	s_waitcnt vmcnt(34)
	v_add_f64 v[193:194], v[193:194], -v[195:196]
	v_mul_f64 v[195:196], v[119:120], s[8:9]
	v_add_f64 v[60:61], v[189:190], v[60:61]
	s_waitcnt vmcnt(32)
	v_add_f64 v[195:196], v[195:196], -v[197:198]
	;; [unrolled: 4-line block ×4, first 2 shown]
	v_mul_f64 v[201:202], v[153:154], s[8:9]
	v_add_f64 v[62:63], v[199:200], v[62:63]
	s_waitcnt vmcnt(26)
	v_add_f64 v[201:202], v[203:204], v[201:202]
	v_mul_f64 v[203:204], v[133:134], s[4:5]
	v_add_f64 v[62:63], v[197:198], v[62:63]
	s_waitcnt vmcnt(24)
	v_add_f64 v[203:204], v[205:206], v[203:204]
	v_mul_f64 v[205:206], v[117:118], s[16:17]
	v_add_f64 v[62:63], v[195:196], v[62:63]
	s_waitcnt vmcnt(22)
	v_add_f64 v[205:206], v[207:208], v[205:206]
	v_mul_f64 v[207:208], v[102:103], s[22:23]
	v_add_f64 v[62:63], v[193:194], v[62:63]
	s_waitcnt vmcnt(20)
	v_add_f64 v[207:208], v[209:210], v[207:208]
	v_mul_f64 v[209:210], v[106:107], s[8:9]
	v_add_f64 v[64:65], v[207:208], v[64:65]
	s_waitcnt vmcnt(18)
	v_add_f64 v[209:210], v[209:210], -v[211:212]
	v_mul_f64 v[211:212], v[119:120], s[4:5]
	v_add_f64 v[64:65], v[205:206], v[64:65]
	s_waitcnt vmcnt(16)
	v_add_f64 v[211:212], v[211:212], -v[213:214]
	;; [unrolled: 4-line block ×4, first 2 shown]
	v_mul_f64 v[217:218], v[153:154], s[6:7]
	v_add_f64 v[66:67], v[215:216], v[66:67]
	s_waitcnt vmcnt(10)
	v_add_f64 v[217:218], v[219:220], v[217:218]
	v_mul_f64 v[219:220], v[102:103], s[18:19]
	v_add_f64 v[66:67], v[213:214], v[66:67]
	s_waitcnt vmcnt(8)
	v_add_f64 v[219:220], v[221:222], v[219:220]
	v_mul_f64 v[221:222], v[117:118], s[22:23]
	v_add_f64 v[66:67], v[211:212], v[66:67]
	v_add_f64 v[68:69], v[219:220], v[68:69]
	s_waitcnt vmcnt(6)
	v_add_f64 v[221:222], v[223:224], v[221:222]
	v_mul_f64 v[223:224], v[133:134], s[16:17]
	v_add_f64 v[66:67], v[209:210], v[66:67]
	;; [unrolled: 5-line block ×3, first 2 shown]
	s_waitcnt vmcnt(2)
	v_add_f64 v[225:226], v[225:226], -v[227:228]
	v_mul_f64 v[227:228], v[102:103], s[10:11]
	v_mul_f64 v[102:103], v[102:103], s[6:7]
	v_add_f64 v[68:69], v[217:218], v[68:69]
	v_add_f64 v[70:71], v[225:226], v[70:71]
	s_waitcnt vmcnt(0)
	v_add_f64 v[227:228], v[229:230], v[227:228]
	s_clause 0x5
	buffer_load_dword v229, off, s[56:59], 0 offset:44
	buffer_load_dword v230, off, s[56:59], 0 offset:48
	;; [unrolled: 1-line block ×6, first 2 shown]
	v_add_f64 v[72:73], v[227:228], v[72:73]
	s_waitcnt vmcnt(4)
	v_add_f64 v[102:103], v[229:230], v[102:103]
	v_mul_f64 v[229:230], v[100:101], s[6:7]
	v_mul_f64 v[100:101], v[100:101], s[10:11]
	v_add_f64 v[38:39], v[102:103], v[38:39]
	s_waitcnt vmcnt(2)
	v_add_f64 v[229:230], v[229:230], -v[231:232]
	v_mul_f64 v[231:232], v[108:109], s[22:23]
	v_add_f64 v[36:37], v[229:230], v[36:37]
	s_waitcnt vmcnt(0)
	v_add_f64 v[231:232], v[231:232], -v[233:234]
	s_clause 0x3
	buffer_load_dword v233, off, s[56:59], 0 offset:276
	buffer_load_dword v234, off, s[56:59], 0 offset:280
	;; [unrolled: 1-line block ×4, first 2 shown]
	v_add_f64 v[70:71], v[231:232], v[70:71]
	s_waitcnt vmcnt(2)
	v_add_f64 v[100:101], v[100:101], -v[233:234]
	v_mul_f64 v[233:234], v[117:118], s[18:19]
	v_mul_f64 v[117:118], v[117:118], s[8:9]
	v_add_f64 v[74:75], v[100:101], v[74:75]
	s_waitcnt vmcnt(0)
	v_add_f64 v[233:234], v[235:236], v[233:234]
	s_clause 0x3
	buffer_load_dword v235, off, s[56:59], 0 offset:76
	buffer_load_dword v236, off, s[56:59], 0 offset:80
	;; [unrolled: 1-line block ×4, first 2 shown]
	v_add_f64 v[72:73], v[233:234], v[72:73]
	s_waitcnt vmcnt(2)
	v_add_f64 v[117:118], v[235:236], v[117:118]
	v_mul_f64 v[235:236], v[108:109], s[8:9]
	v_mul_f64 v[108:109], v[108:109], s[18:19]
	v_add_f64 v[38:39], v[117:118], v[38:39]
	s_waitcnt vmcnt(0)
	v_add_f64 v[235:236], v[235:236], -v[237:238]
	s_clause 0x5
	buffer_load_dword v237, off, s[56:59], 0 offset:284
	buffer_load_dword v238, off, s[56:59], 0 offset:288
	;; [unrolled: 1-line block ×6, first 2 shown]
	v_add_f64 v[36:37], v[235:236], v[36:37]
	s_waitcnt vmcnt(4)
	v_add_f64 v[108:109], v[108:109], -v[237:238]
	v_mul_f64 v[237:238], v[119:120], s[16:17]
	v_add_f64 v[74:75], v[108:109], v[74:75]
	s_waitcnt vmcnt(2)
	v_add_f64 v[237:238], v[237:238], -v[239:240]
	v_mul_f64 v[239:240], v[133:134], s[22:23]
	v_mul_f64 v[133:134], v[133:134], s[10:11]
	v_add_f64 v[70:71], v[237:238], v[70:71]
	s_waitcnt vmcnt(0)
	v_add_f64 v[239:240], v[241:242], v[239:240]
	s_clause 0x3
	buffer_load_dword v241, off, s[56:59], 0 offset:84
	buffer_load_dword v242, off, s[56:59], 0 offset:88
	;; [unrolled: 1-line block ×4, first 2 shown]
	v_add_f64 v[72:73], v[239:240], v[72:73]
	s_waitcnt vmcnt(2)
	v_add_f64 v[133:134], v[241:242], v[133:134]
	v_mul_f64 v[241:242], v[119:120], s[10:11]
	v_mul_f64 v[119:120], v[119:120], s[22:23]
	v_add_f64 v[38:39], v[133:134], v[38:39]
	s_waitcnt vmcnt(0)
	v_add_f64 v[241:242], v[241:242], -v[243:244]
	s_clause 0xf
	buffer_load_dword v243, off, s[56:59], 0 offset:260
	buffer_load_dword v244, off, s[56:59], 0 offset:264
	;; [unrolled: 1-line block ×16, first 2 shown]
	v_add_f64 v[36:37], v[241:242], v[36:37]
	s_waitcnt vmcnt(14)
	v_add_f64 v[119:120], v[119:120], -v[243:244]
	v_mul_f64 v[243:244], v[106:107], s[6:7]
	s_waitcnt vmcnt(10)
	v_add_f64 v[84:85], v[127:128], v[84:85]
	s_waitcnt vmcnt(8)
	v_add_f64 v[82:83], v[82:83], -v[98:99]
	s_waitcnt vmcnt(6)
	v_add_f64 v[80:81], v[96:97], v[80:81]
	s_waitcnt vmcnt(4)
	v_add_f64 v[78:79], v[78:79], -v[94:95]
	s_waitcnt vmcnt(2)
	v_add_f64 v[76:77], v[92:93], v[76:77]
	s_clause 0x9
	buffer_load_dword v92, off, s[56:59], 0 offset:348
	buffer_load_dword v93, off, s[56:59], 0 offset:352
	;; [unrolled: 1-line block ×10, first 2 shown]
	s_waitcnt vmcnt(10)
	v_add_f64 v[56:57], v[56:57], -v[90:91]
	v_mul_f64 v[90:91], v[129:130], s[20:21]
	v_add_f64 v[74:75], v[119:120], v[74:75]
	v_add_f64 v[243:244], v[243:244], -v[245:246]
	v_add_f64 v[72:73], v[84:85], v[72:73]
	v_mul_f64 v[84:85], v[112:113], s[16:17]
	v_add_f64 v[38:39], v[80:81], v[38:39]
	v_add_f64 v[36:37], v[78:79], v[36:37]
	v_mul_f64 v[78:79], v[143:144], s[4:5]
	v_mul_f64 v[80:81], v[112:113], s[18:19]
	v_add_f64 v[60:61], v[76:77], v[60:61]
	v_mul_f64 v[76:77], v[139:140], s[4:5]
	v_add_f64 v[56:57], v[56:57], v[62:63]
	;; [unrolled: 2-line block ×3, first 2 shown]
	v_add_f64 v[70:71], v[243:244], v[70:71]
	s_waitcnt vmcnt(8)
	v_add_f64 v[90:91], v[92:93], v[90:91]
	v_mul_f64 v[92:93], v[112:113], s[20:21]
	v_add_f64 v[64:65], v[90:91], v[64:65]
	s_waitcnt vmcnt(6)
	v_add_f64 v[92:93], v[92:93], -v[94:95]
	v_mul_f64 v[94:95], v[129:130], s[4:5]
	v_mul_f64 v[90:91], v[139:140], s[18:19]
	v_add_f64 v[66:67], v[92:93], v[66:67]
	s_waitcnt vmcnt(4)
	v_add_f64 v[94:95], v[96:97], v[94:95]
	v_mul_f64 v[96:97], v[112:113], s[4:5]
	v_add_f64 v[68:69], v[94:95], v[68:69]
	s_waitcnt vmcnt(2)
	v_add_f64 v[96:97], v[96:97], -v[98:99]
	v_mul_f64 v[98:99], v[129:130], s[16:17]
	v_mul_f64 v[94:95], v[139:140], s[10:11]
	v_add_f64 v[70:71], v[96:97], v[70:71]
	s_waitcnt vmcnt(0)
	v_add_f64 v[98:99], v[100:101], v[98:99]
	s_clause 0x3
	buffer_load_dword v100, off, s[56:59], 0 offset:180
	buffer_load_dword v101, off, s[56:59], 0 offset:184
	;; [unrolled: 1-line block ×4, first 2 shown]
	v_add_f64 v[72:73], v[98:99], v[72:73]
	v_mul_f64 v[98:99], v[139:140], s[8:9]
	s_waitcnt vmcnt(2)
	v_add_f64 v[84:85], v[84:85], -v[100:101]
	v_mul_f64 v[100:101], v[129:130], s[18:19]
	v_add_f64 v[74:75], v[84:85], v[74:75]
	s_waitcnt vmcnt(0)
	v_add_f64 v[100:101], v[102:103], v[100:101]
	s_clause 0x3
	buffer_load_dword v102, off, s[56:59], 0 offset:28
	buffer_load_dword v103, off, s[56:59], 0 offset:32
	;; [unrolled: 1-line block ×4, first 2 shown]
	v_add_f64 v[38:39], v[100:101], v[38:39]
	v_mul_f64 v[100:101], v[139:140], s[20:21]
	s_waitcnt vmcnt(2)
	v_add_f64 v[80:81], v[80:81], -v[102:103]
	s_waitcnt vmcnt(0)
	v_add_f64 v[78:79], v[82:83], v[78:79]
	s_clause 0x3
	buffer_load_dword v82, off, s[56:59], 0 offset:404
	buffer_load_dword v83, off, s[56:59], 0 offset:408
	;; [unrolled: 1-line block ×4, first 2 shown]
	v_add_f64 v[36:37], v[80:81], v[36:37]
	v_add_f64 v[60:61], v[78:79], v[60:61]
	v_mul_f64 v[78:79], v[147:148], s[18:19]
	s_waitcnt vmcnt(2)
	v_add_f64 v[76:77], v[76:77], -v[82:83]
	v_mul_f64 v[82:83], v[143:144], s[18:19]
	v_add_f64 v[76:77], v[76:77], v[56:57]
	s_waitcnt vmcnt(0)
	v_add_f64 v[82:83], v[102:103], v[82:83]
	s_clause 0x3
	buffer_load_dword v102, off, s[56:59], 0 offset:324
	buffer_load_dword v103, off, s[56:59], 0 offset:328
	buffer_load_dword v106, off, s[56:59], 0 offset:220
	buffer_load_dword v107, off, s[56:59], 0 offset:224
	v_add_f64 v[64:65], v[82:83], v[64:65]
	v_mul_f64 v[82:83], v[147:148], s[6:7]
	s_waitcnt vmcnt(2)
	v_add_f64 v[90:91], v[90:91], -v[102:103]
	v_mul_f64 v[102:103], v[143:144], s[10:11]
	v_add_f64 v[90:91], v[90:91], v[66:67]
	s_waitcnt vmcnt(0)
	v_add_f64 v[102:103], v[106:107], v[102:103]
	s_clause 0x3
	buffer_load_dword v106, off, s[56:59], 0 offset:212
	buffer_load_dword v107, off, s[56:59], 0 offset:216
	buffer_load_dword v108, off, s[56:59], 0 offset:164
	buffer_load_dword v109, off, s[56:59], 0 offset:168
	v_add_f64 v[66:67], v[46:47], v[32:33]
	v_add_f64 v[68:69], v[102:103], v[68:69]
	s_waitcnt vmcnt(2)
	v_add_f64 v[94:95], v[94:95], -v[106:107]
	v_mul_f64 v[106:107], v[143:144], s[8:9]
	v_add_f64 v[70:71], v[94:95], v[70:71]
	s_waitcnt vmcnt(0)
	v_add_f64 v[106:107], v[108:109], v[106:107]
	s_clause 0x3
	buffer_load_dword v108, off, s[56:59], 0 offset:148
	buffer_load_dword v109, off, s[56:59], 0 offset:152
	buffer_load_dword v110, off, s[56:59], 0 offset:100
	buffer_load_dword v111, off, s[56:59], 0 offset:104
	v_add_f64 v[94:95], v[183:184], v[58:59]
	v_add_f64 v[72:73], v[106:107], v[72:73]
	;; [unrolled: 13-line block ×3, first 2 shown]
	v_mul_f64 v[108:109], v[147:148], s[22:23]
	s_waitcnt vmcnt(2)
	v_add_f64 v[100:101], v[100:101], -v[110:111]
	s_waitcnt vmcnt(0)
	v_add_f64 v[62:63], v[80:81], v[62:63]
	s_clause 0x3
	buffer_load_dword v80, off, s[56:59], 0 offset:356
	buffer_load_dword v81, off, s[56:59], 0 offset:360
	;; [unrolled: 1-line block ×4, first 2 shown]
	v_add_f64 v[100:101], v[100:101], v[36:37]
	v_add_f64 v[36:37], v[40:41], v[44:45]
	;; [unrolled: 1-line block ×5, first 2 shown]
	s_waitcnt vmcnt(2)
	v_add_f64 v[78:79], v[78:79], -v[80:81]
	v_mul_f64 v[80:81], v[155:156], s[6:7]
	v_add_f64 v[46:47], v[78:79], v[76:77]
	s_waitcnt vmcnt(0)
	v_add_f64 v[80:81], v[84:85], v[80:81]
	s_clause 0xb
	buffer_load_dword v84, off, s[56:59], 0 offset:252
	buffer_load_dword v85, off, s[56:59], 0 offset:256
	;; [unrolled: 1-line block ×12, first 2 shown]
	v_add_f64 v[52:53], v[80:81], v[64:65]
	s_waitcnt vmcnt(10)
	v_add_f64 v[82:83], v[82:83], -v[84:85]
	v_mul_f64 v[84:85], v[155:156], s[20:21]
	v_add_f64 v[50:51], v[82:83], v[90:91]
	s_waitcnt vmcnt(8)
	v_add_f64 v[84:85], v[92:93], v[84:85]
	v_mul_f64 v[92:93], v[147:148], s[20:21]
	v_add_f64 v[56:57], v[84:85], v[68:69]
	s_waitcnt vmcnt(6)
	v_add_f64 v[92:93], v[92:93], -v[96:97]
	v_mul_f64 v[96:97], v[155:156], s[4:5]
	v_add_f64 v[68:69], v[42:43], v[34:35]
	v_add_f64 v[42:43], v[185:186], v[94:95]
	v_add_f64 v[34:35], v[86:87], v[88:89]
	v_add_f64 v[54:55], v[92:93], v[70:71]
	s_waitcnt vmcnt(4)
	v_add_f64 v[96:97], v[102:103], v[96:97]
	v_mul_f64 v[102:103], v[147:148], s[4:5]
	v_add_f64 v[60:61], v[96:97], v[72:73]
	s_waitcnt vmcnt(2)
	v_add_f64 v[102:103], v[102:103], -v[106:107]
	v_mul_f64 v[106:107], v[155:156], s[22:23]
	v_add_f64 v[58:59], v[102:103], v[74:75]
	s_waitcnt vmcnt(0)
	v_add_f64 v[106:107], v[110:111], v[106:107]
	s_clause 0x3
	buffer_load_dword v110, off, s[56:59], 0 offset:108
	buffer_load_dword v111, off, s[56:59], 0 offset:112
	;; [unrolled: 1-line block ×4, first 2 shown]
	v_add_f64 v[64:65], v[106:107], v[38:39]
	v_add_f64 v[38:39], v[131:132], v[98:99]
	s_waitcnt vmcnt(2)
	v_add_f64 v[108:109], v[108:109], -v[110:111]
	s_waitcnt vmcnt(1)
	v_and_b32_e32 v32, 0xffff, v32
	s_waitcnt vmcnt(0)
	v_add_lshl_u32 v32, v33, v32, 4
	v_add_f64 v[62:63], v[108:109], v[100:101]
	ds_write_b128 v32, v[66:69]
	ds_write_b128 v32, v[62:65] offset:16
	ds_write_b128 v32, v[58:61] offset:32
	;; [unrolled: 1-line block ×16, first 2 shown]
.LBB0_7:
	s_or_b32 exec_lo, exec_lo, s24
	buffer_load_dword v141, off, s[56:59], 0 ; 4-byte Folded Reload
	s_load_dwordx4 s[4:7], s[2:3], 0x0
	s_waitcnt vmcnt(0) lgkmcnt(0)
	s_waitcnt_vscnt null, 0x0
	s_barrier
	buffer_gl0_inv
	s_mov_b32 s2, 0x8c811c17
	s_mov_b32 s8, 0xa2cf5039
	;; [unrolled: 1-line block ×6, first 2 shown]
	v_lshlrev_b32_e32 v32, 7, v141
	s_clause 0x7
	global_load_dwordx4 v[40:43], v32, s[0:1]
	global_load_dwordx4 v[48:51], v32, s[0:1] offset:112
	global_load_dwordx4 v[44:47], v32, s[0:1] offset:48
	;; [unrolled: 1-line block ×7, first 2 shown]
	buffer_load_dword v64, off, s[56:59], 0 offset:4 ; 4-byte Folded Reload
	s_mov_b32 s1, 0x3fe491b7
	s_mov_b32 s0, 0x523c161c
	s_waitcnt vmcnt(0)
	v_add_lshl_u32 v142, v64, v141, 4
	ds_read_b128 v[64:67], v142 offset:272
	ds_read_b128 v[68:71], v142 offset:2176
	;; [unrolled: 1-line block ×8, first 2 shown]
	s_waitcnt lgkmcnt(7)
	v_mul_f64 v[96:97], v[66:67], v[42:43]
	v_mul_f64 v[98:99], v[64:65], v[42:43]
	s_waitcnt lgkmcnt(6)
	v_mul_f64 v[100:101], v[70:71], v[50:51]
	v_mul_f64 v[102:103], v[68:69], v[50:51]
	s_waitcnt lgkmcnt(5)
	v_mul_f64 v[104:105], v[74:75], v[46:47]
	s_waitcnt lgkmcnt(4)
	;; [unrolled: 2-line block ×3, first 2 shown]
	v_mul_f64 v[112:113], v[82:83], v[58:59]
	v_mul_f64 v[114:115], v[80:81], v[58:59]
	s_waitcnt lgkmcnt(2)
	v_mul_f64 v[117:118], v[86:87], v[54:55]
	v_mul_f64 v[119:120], v[84:85], v[54:55]
	;; [unrolled: 1-line block ×4, first 2 shown]
	v_fma_f64 v[96:97], v[64:65], v[40:41], -v[96:97]
	v_fma_f64 v[98:99], v[66:67], v[40:41], v[98:99]
	ds_read_b128 v[64:67], v142
	v_fma_f64 v[68:69], v[68:69], v[48:49], -v[100:101]
	v_fma_f64 v[70:71], v[70:71], v[48:49], v[102:103]
	v_fma_f64 v[72:73], v[72:73], v[44:45], -v[104:105]
	v_fma_f64 v[100:101], v[76:77], v[60:61], -v[108:109]
	;; [unrolled: 1-line block ×3, first 2 shown]
	v_fma_f64 v[80:81], v[82:83], v[56:57], v[114:115]
	v_fma_f64 v[82:83], v[84:85], v[52:53], -v[117:118]
	v_fma_f64 v[84:85], v[86:87], v[52:53], v[119:120]
	s_waitcnt lgkmcnt(2)
	v_mul_f64 v[86:87], v[90:91], v[38:39]
	v_mul_f64 v[102:103], v[88:89], v[38:39]
	s_waitcnt lgkmcnt(1)
	v_mul_f64 v[104:105], v[94:95], v[34:35]
	v_fma_f64 v[74:75], v[74:75], v[44:45], v[106:107]
	v_fma_f64 v[78:79], v[78:79], v[60:61], v[110:111]
	v_mul_f64 v[106:107], v[92:93], v[34:35]
	v_add_f64 v[108:109], v[96:97], -v[68:69]
	v_add_f64 v[68:69], v[96:97], v[68:69]
	v_add_f64 v[110:111], v[98:99], -v[70:71]
	v_add_f64 v[96:97], v[72:73], v[100:101]
	;; [unrolled: 2-line block ×3, first 2 shown]
	v_add_f64 v[117:118], v[76:77], v[82:83]
	v_add_f64 v[119:120], v[80:81], v[84:85]
	v_fma_f64 v[86:87], v[88:89], v[36:37], -v[86:87]
	v_fma_f64 v[88:89], v[90:91], v[36:37], v[102:103]
	v_fma_f64 v[90:91], v[92:93], v[32:33], -v[104:105]
	v_add_f64 v[76:77], v[76:77], -v[82:83]
	v_add_f64 v[98:99], v[74:75], v[78:79]
	v_add_f64 v[114:115], v[74:75], -v[78:79]
	v_add_f64 v[80:81], v[80:81], -v[84:85]
	v_fma_f64 v[92:93], v[94:95], v[32:33], v[106:107]
	v_mul_f64 v[82:83], v[108:109], s[0:1]
	s_waitcnt lgkmcnt(0)
	v_fma_f64 v[94:95], v[68:69], s[8:9], v[64:65]
	v_mul_f64 v[84:85], v[110:111], s[0:1]
	s_mov_b32 s1, 0xbfe491b7
	v_fma_f64 v[104:105], v[96:97], s[8:9], v[64:65]
	v_fma_f64 v[102:103], v[70:71], s[8:9], v[66:67]
	v_add_f64 v[137:138], v[117:118], v[68:69]
	v_mul_f64 v[121:122], v[112:113], s[2:3]
	v_fma_f64 v[125:126], v[117:118], s[8:9], v[64:65]
	v_fma_f64 v[127:128], v[119:120], s[8:9], v[66:67]
	v_add_f64 v[133:134], v[86:87], v[90:91]
	v_mul_f64 v[131:132], v[112:113], s[0:1]
	v_fma_f64 v[106:107], v[98:99], s[8:9], v[66:67]
	v_mul_f64 v[123:124], v[114:115], s[2:3]
	v_mul_f64 v[129:130], v[114:115], s[0:1]
	v_add_f64 v[135:136], v[88:89], v[92:93]
	v_add_f64 v[139:140], v[119:120], v[70:71]
	v_add_f64 v[86:87], v[86:87], -v[90:91]
	v_add_f64 v[88:89], v[88:89], -v[92:93]
	s_mov_b32 s8, 0xe8584cab
	s_mov_b32 s9, 0x3febb67a
	v_fma_f64 v[82:83], v[76:77], s[2:3], v[82:83]
	v_fma_f64 v[90:91], v[117:118], s[10:11], v[94:95]
	;; [unrolled: 1-line block ×5, first 2 shown]
	v_add_f64 v[147:148], v[96:97], v[137:138]
	v_fma_f64 v[104:105], v[76:77], s[0:1], -v[121:122]
	v_fma_f64 v[121:122], v[96:97], s[10:11], v[125:126]
	v_add_f64 v[137:138], v[133:134], v[137:138]
	v_add_f64 v[143:144], v[64:65], v[133:134]
	v_fma_f64 v[102:103], v[70:71], s[10:11], v[106:107]
	v_fma_f64 v[106:107], v[80:81], s[0:1], -v[123:124]
	v_fma_f64 v[123:124], v[98:99], s[10:11], v[127:128]
	v_fma_f64 v[125:126], v[110:111], s[2:3], v[129:130]
	;; [unrolled: 1-line block ×3, first 2 shown]
	s_mov_b32 s1, 0xbfebb67a
	s_mov_b32 s0, s8
	v_add_f64 v[129:130], v[112:113], v[108:109]
	v_add_f64 v[131:132], v[114:115], v[110:111]
	;; [unrolled: 1-line block ×5, first 2 shown]
	v_fma_f64 v[82:83], v[86:87], s[8:9], v[82:83]
	v_fma_f64 v[84:85], v[88:89], s[8:9], v[84:85]
	v_fma_f64 v[90:91], v[133:134], -0.5, v[90:91]
	v_fma_f64 v[92:93], v[135:136], -0.5, v[92:93]
	;; [unrolled: 1-line block ×3, first 2 shown]
	v_fma_f64 v[104:105], v[86:87], s[8:9], v[104:105]
	v_fma_f64 v[121:122], v[133:134], -0.5, v[121:122]
	s_mov_b32 s2, 0x748a0bf8
	v_add_f64 v[72:73], v[72:73], v[137:138]
	s_mov_b32 s10, 0x42522d1b
	v_fma_f64 v[102:103], v[135:136], -0.5, v[102:103]
	v_fma_f64 v[106:107], v[88:89], s[8:9], v[106:107]
	v_fma_f64 v[123:124], v[135:136], -0.5, v[123:124]
	v_fma_f64 v[88:89], v[88:89], s[0:1], v[125:126]
	v_fma_f64 v[86:87], v[86:87], s[0:1], v[127:128]
	s_mov_b32 s3, 0x3fd5e3a8
	s_mov_b32 s11, 0xbfee11f6
	v_add_f64 v[125:126], v[129:130], -v[76:77]
	v_add_f64 v[127:128], v[131:132], -v[80:81]
	v_fma_f64 v[129:130], v[147:148], -0.5, v[143:144]
	v_fma_f64 v[131:132], v[149:150], -0.5, v[145:146]
	v_add_f64 v[74:75], v[74:75], v[139:140]
	v_fma_f64 v[82:83], v[112:113], s[2:3], v[82:83]
	v_fma_f64 v[112:113], v[114:115], s[2:3], v[84:85]
	;; [unrolled: 1-line block ×6, first 2 shown]
	v_add_f64 v[72:73], v[100:101], v[72:73]
	buffer_load_dword v100, off, s[56:59], 0 offset:8 ; 4-byte Folded Reload
	v_fma_f64 v[98:99], v[119:120], s[10:11], v[102:103]
	v_fma_f64 v[102:103], v[108:109], s[2:3], v[104:105]
	;; [unrolled: 1-line block ×6, first 2 shown]
	v_mul_f64 v[108:109], v[125:126], s[8:9]
	v_mul_f64 v[110:111], v[127:128], s[8:9]
	v_fma_f64 v[76:77], v[127:128], s[8:9], v[129:130]
	v_add_f64 v[74:75], v[78:79], v[74:75]
	v_fma_f64 v[78:79], v[125:126], s[0:1], v[131:132]
	v_add_f64 v[92:93], v[112:113], v[84:85]
	v_add_f64 v[94:95], v[90:91], -v[82:83]
	v_add_f64 v[64:65], v[64:65], v[72:73]
	v_add_f64 v[84:85], v[104:105], v[68:69]
	v_add_f64 v[86:87], v[70:71], -v[102:103]
	v_add_f64 v[88:89], v[80:81], v[96:97]
	v_add_f64 v[90:91], v[98:99], -v[106:107]
	v_fma_f64 v[68:69], v[110:111], -2.0, v[76:77]
	v_add_f64 v[66:67], v[66:67], v[74:75]
	v_fma_f64 v[70:71], v[108:109], 2.0, v[78:79]
	v_fma_f64 v[96:97], v[112:113], -2.0, v[92:93]
	v_fma_f64 v[98:99], v[82:83], 2.0, v[94:95]
	v_fma_f64 v[72:73], v[104:105], -2.0, v[84:85]
	;; [unrolled: 2-line block ×3, first 2 shown]
	v_fma_f64 v[82:83], v[106:107], 2.0, v[90:91]
	s_waitcnt vmcnt(0)
	v_lshl_add_u32 v141, v141, 4, v100
	ds_write_b128 v141, v[76:79] offset:816
	ds_write_b128 v141, v[64:67]
	ds_write_b128 v141, v[92:95] offset:272
	ds_write_b128 v141, v[84:87] offset:1088
	;; [unrolled: 1-line block ×7, first 2 shown]
	s_waitcnt lgkmcnt(0)
	s_barrier
	buffer_gl0_inv
	s_and_saveexec_b32 s1, vcc_lo
	s_cbranch_execz .LBB0_9
; %bb.8:
	s_add_u32 s2, s12, 0x990
	s_addc_u32 s3, s13, 0
	v_add_co_u32 v159, s0, s2, v255
	s_clause 0xa
	global_load_dwordx4 v[100:103], v255, s[2:3]
	global_load_dwordx4 v[104:107], v255, s[2:3] offset:144
	global_load_dwordx4 v[108:111], v255, s[2:3] offset:288
	;; [unrolled: 1-line block ×10, first 2 shown]
	v_add_co_ci_u32_e64 v160, null, s3, 0, s0
	v_add_co_u32 v167, s0, 0x800, v159
	v_or_b32_e32 v163, 0x900, v255
	global_load_dwordx4 v[147:150], v255, s[2:3] offset:1584
	v_add_co_ci_u32_e64 v168, s0, 0, v160, s0
	s_clause 0x4
	global_load_dwordx4 v[151:154], v255, s[2:3] offset:1728
	global_load_dwordx4 v[155:158], v255, s[2:3] offset:1872
	;; [unrolled: 1-line block ×3, first 2 shown]
	global_load_dwordx4 v[163:166], v163, s[2:3]
	global_load_dwordx4 v[167:170], v[167:168], off offset:112
	ds_read_b128 v[171:174], v141
	ds_read_b128 v[175:178], v141 offset:144
	ds_read_b128 v[179:182], v141 offset:288
	;; [unrolled: 1-line block ×7, first 2 shown]
	s_waitcnt vmcnt(16) lgkmcnt(7)
	v_mul_f64 v[203:204], v[173:174], v[102:103]
	v_mul_f64 v[102:103], v[171:172], v[102:103]
	s_waitcnt vmcnt(15) lgkmcnt(6)
	v_mul_f64 v[205:206], v[177:178], v[106:107]
	v_mul_f64 v[106:107], v[175:176], v[106:107]
	;; [unrolled: 3-line block ×3, first 2 shown]
	s_waitcnt vmcnt(13) lgkmcnt(4)
	v_mul_f64 v[209:210], v[185:186], v[114:115]
	s_waitcnt vmcnt(12) lgkmcnt(3)
	v_mul_f64 v[211:212], v[189:190], v[119:120]
	v_mul_f64 v[114:115], v[183:184], v[114:115]
	s_waitcnt vmcnt(11) lgkmcnt(2)
	v_mul_f64 v[213:214], v[193:194], v[123:124]
	v_mul_f64 v[119:120], v[187:188], v[119:120]
	;; [unrolled: 1-line block ×3, first 2 shown]
	s_waitcnt vmcnt(10) lgkmcnt(1)
	v_mul_f64 v[215:216], v[197:198], v[127:128]
	v_mul_f64 v[127:128], v[195:196], v[127:128]
	s_waitcnt vmcnt(9) lgkmcnt(0)
	v_mul_f64 v[217:218], v[201:202], v[131:132]
	v_mul_f64 v[131:132], v[199:200], v[131:132]
	v_fma_f64 v[171:172], v[171:172], v[100:101], -v[203:204]
	v_fma_f64 v[173:174], v[173:174], v[100:101], v[102:103]
	ds_read_b128 v[100:103], v141 offset:1152
	v_fma_f64 v[175:176], v[175:176], v[104:105], -v[205:206]
	v_fma_f64 v[177:178], v[177:178], v[104:105], v[106:107]
	ds_read_b128 v[104:107], v141 offset:1296
	v_fma_f64 v[179:180], v[179:180], v[108:109], -v[207:208]
	v_fma_f64 v[181:182], v[181:182], v[108:109], v[110:111]
	v_fma_f64 v[108:109], v[183:184], v[112:113], -v[209:210]
	ds_read_b128 v[203:206], v141 offset:1440
	v_fma_f64 v[183:184], v[187:188], v[117:118], -v[211:212]
	v_fma_f64 v[110:111], v[185:186], v[112:113], v[114:115]
	ds_read_b128 v[112:115], v141 offset:1584
	v_fma_f64 v[191:192], v[191:192], v[121:122], -v[213:214]
	v_fma_f64 v[185:186], v[189:190], v[117:118], v[119:120]
	ds_read_b128 v[117:120], v141 offset:1728
	ds_read_b128 v[187:190], v141 offset:1872
	v_fma_f64 v[193:194], v[193:194], v[121:122], v[123:124]
	v_fma_f64 v[121:122], v[195:196], v[125:126], -v[215:216]
	v_fma_f64 v[123:124], v[197:198], v[125:126], v[127:128]
	ds_read_b128 v[125:128], v141 offset:2016
	ds_read_b128 v[195:198], v141 offset:2160
	;; [unrolled: 1-line block ×3, first 2 shown]
	v_fma_f64 v[199:200], v[199:200], v[129:130], -v[217:218]
	v_fma_f64 v[201:202], v[201:202], v[129:130], v[131:132]
	s_waitcnt vmcnt(8) lgkmcnt(8)
	v_mul_f64 v[211:212], v[102:103], v[135:136]
	v_mul_f64 v[135:136], v[100:101], v[135:136]
	s_waitcnt vmcnt(7) lgkmcnt(7)
	v_mul_f64 v[213:214], v[106:107], v[139:140]
	v_mul_f64 v[139:140], v[104:105], v[139:140]
	;; [unrolled: 3-line block ×4, first 2 shown]
	v_fma_f64 v[100:101], v[100:101], v[133:134], -v[211:212]
	v_fma_f64 v[102:103], v[102:103], v[133:134], v[135:136]
	s_waitcnt vmcnt(4) lgkmcnt(4)
	v_mul_f64 v[133:134], v[119:120], v[153:154]
	v_mul_f64 v[135:136], v[117:118], v[153:154]
	s_waitcnt vmcnt(3) lgkmcnt(3)
	v_mul_f64 v[153:154], v[189:190], v[157:158]
	v_mul_f64 v[157:158], v[187:188], v[157:158]
	v_fma_f64 v[104:105], v[104:105], v[137:138], -v[213:214]
	v_fma_f64 v[106:107], v[106:107], v[137:138], v[139:140]
	s_waitcnt vmcnt(2) lgkmcnt(2)
	v_mul_f64 v[137:138], v[127:128], v[161:162]
	v_mul_f64 v[139:140], v[125:126], v[161:162]
	s_waitcnt vmcnt(0) lgkmcnt(1)
	v_mul_f64 v[211:212], v[197:198], v[169:170]
	v_mul_f64 v[169:170], v[195:196], v[169:170]
	s_waitcnt lgkmcnt(0)
	v_mul_f64 v[161:162], v[209:210], v[165:166]
	v_mul_f64 v[165:166], v[207:208], v[165:166]
	v_fma_f64 v[129:130], v[203:204], v[143:144], -v[129:130]
	v_fma_f64 v[131:132], v[205:206], v[143:144], v[131:132]
	v_fma_f64 v[112:113], v[112:113], v[147:148], -v[145:146]
	v_fma_f64 v[114:115], v[114:115], v[147:148], v[149:150]
	;; [unrolled: 2-line block ×7, first 2 shown]
	ds_write_b128 v141, v[171:174]
	ds_write_b128 v141, v[175:178] offset:144
	ds_write_b128 v141, v[179:182] offset:288
	;; [unrolled: 1-line block ×16, first 2 shown]
.LBB0_9:
	s_or_b32 exec_lo, exec_lo, s1
	s_waitcnt lgkmcnt(0)
	s_barrier
	buffer_gl0_inv
	s_and_saveexec_b32 s0, vcc_lo
	s_cbranch_execz .LBB0_11
; %bb.10:
	ds_read_b128 v[64:67], v141
	ds_read_b128 v[92:95], v141 offset:144
	ds_read_b128 v[88:91], v141 offset:288
	;; [unrolled: 1-line block ×16, first 2 shown]
.LBB0_11:
	s_or_b32 exec_lo, exec_lo, s0
	s_waitcnt lgkmcnt(0)
	s_barrier
	buffer_gl0_inv
	s_and_saveexec_b32 s33, vcc_lo
	s_cbranch_execz .LBB0_13
; %bb.12:
	v_add_f64 v[100:101], v[66:67], v[94:95]
	v_add_f64 v[102:103], v[64:65], v[92:93]
	v_add_f64 v[133:134], v[92:93], -v[0:1]
	v_add_f64 v[135:136], v[94:95], -v[2:3]
	s_mov_b32 s2, 0xacd6c6b4
	s_mov_b32 s3, 0xbfc7851a
	v_add_f64 v[108:109], v[88:89], -v[4:5]
	v_add_f64 v[137:138], v[94:95], v[2:3]
	v_add_f64 v[106:107], v[90:91], -v[6:7]
	v_add_f64 v[139:140], v[92:93], v[0:1]
	s_mov_b32 s8, 0x5d8e7cdc
	s_mov_b32 s0, 0x7faef3
	;; [unrolled: 1-line block ×4, first 2 shown]
	v_add_f64 v[110:111], v[76:77], -v[8:9]
	v_add_f64 v[114:115], v[90:91], v[6:7]
	v_add_f64 v[112:113], v[88:89], v[4:5]
	s_mov_b32 s16, 0x4363dd80
	s_mov_b32 s10, 0x370991
	;; [unrolled: 1-line block ×4, first 2 shown]
	v_add_f64 v[119:120], v[84:85], -v[12:13]
	v_add_f64 v[100:101], v[100:101], v[90:91]
	v_add_f64 v[102:103], v[102:103], v[88:89]
	v_mul_f64 v[117:118], v[133:134], s[2:3]
	v_mul_f64 v[121:122], v[135:136], s[2:3]
	v_add_f64 v[90:91], v[78:79], -v[10:11]
	v_add_f64 v[129:130], v[78:79], v[10:11]
	v_mul_f64 v[131:132], v[108:109], s[8:9]
	v_add_f64 v[127:128], v[76:77], v[8:9]
	v_mul_f64 v[143:144], v[106:107], s[8:9]
	s_mov_b32 s22, 0x2a9d6da3
	s_mov_b32 s18, 0x910ea3b9
	s_mov_b32 s23, 0x3fe58eea
	s_mov_b32 s19, 0xbfeb34fa
	v_add_f64 v[94:95], v[96:97], -v[28:29]
	v_mul_f64 v[155:156], v[110:111], s[16:17]
	v_add_f64 v[92:93], v[98:99], v[30:31]
	v_add_f64 v[88:89], v[74:75], v[18:19]
	s_mov_b32 s26, 0x6c9a05f6
	s_mov_b32 s20, 0x75d4884
	;; [unrolled: 1-line block ×5, first 2 shown]
	v_add_f64 v[100:101], v[100:101], v[78:79]
	v_add_f64 v[102:103], v[102:103], v[76:77]
	v_fma_f64 v[145:146], v[137:138], s[0:1], v[117:118]
	v_fma_f64 v[147:148], v[139:140], s[0:1], -v[121:122]
	v_fma_f64 v[149:150], v[137:138], s[0:1], -v[117:118]
	v_add_f64 v[117:118], v[86:87], -v[14:15]
	v_mul_f64 v[157:158], v[90:91], s[16:17]
	v_fma_f64 v[159:160], v[139:140], s[0:1], v[121:122]
	v_fma_f64 v[161:162], v[114:115], s[10:11], v[131:132]
	v_fma_f64 v[163:164], v[112:113], s[10:11], -v[143:144]
	v_fma_f64 v[165:166], v[114:115], s[10:11], -v[131:132]
	v_add_f64 v[76:77], v[96:97], v[28:29]
	v_add_f64 v[78:79], v[98:99], -v[30:31]
	v_add_f64 v[131:132], v[74:75], -v[18:19]
	;; [unrolled: 1-line block ×3, first 2 shown]
	s_mov_b32 s30, 0x7c9e640b
	s_mov_b32 s25, 0xbfe348c8
	;; [unrolled: 1-line block ×7, first 2 shown]
	v_add_f64 v[100:101], v[100:101], v[86:87]
	v_add_f64 v[102:103], v[102:103], v[84:85]
	;; [unrolled: 1-line block ×5, first 2 shown]
	s_mov_b32 s36, 0xc61f0d01
	s_mov_b32 s37, 0xbfd183b1
	;; [unrolled: 1-line block ×17, first 2 shown]
	v_add_f64 v[100:101], v[100:101], v[74:75]
	v_add_f64 v[102:103], v[102:103], v[72:73]
	;; [unrolled: 1-line block ×4, first 2 shown]
	v_fma_f64 v[147:148], v[127:128], s[18:19], -v[157:158]
	v_add_f64 v[149:150], v[165:166], v[149:150]
	s_mov_b32 s55, 0x3fe0d888
	s_mov_b32 s54, s16
	v_add_f64 v[104:105], v[100:101], v[70:71]
	v_add_f64 v[102:103], v[102:103], v[68:69]
	v_add_f64 v[100:101], v[80:81], -v[24:25]
	v_add_f64 v[145:146], v[147:148], v[145:146]
	v_add_f64 v[123:124], v[104:105], v[82:83]
	;; [unrolled: 1-line block ×3, first 2 shown]
	v_add_f64 v[102:103], v[68:69], -v[20:21]
	v_add_f64 v[104:105], v[72:73], -v[16:17]
	v_add_f64 v[80:81], v[80:81], v[24:25]
	v_add_f64 v[151:152], v[123:124], v[98:99]
	;; [unrolled: 1-line block ×8, first 2 shown]
	v_mul_f64 v[68:69], v[119:120], s[22:23]
	v_fma_f64 v[70:71], v[112:113], s[10:11], v[143:144]
	v_add_f64 v[72:73], v[64:65], v[159:160]
	v_fma_f64 v[143:144], v[129:130], s[18:19], v[155:156]
	v_add_f64 v[84:85], v[82:83], v[26:27]
	v_add_f64 v[82:83], v[82:83], -v[26:27]
	v_add_f64 v[30:31], v[151:152], v[30:31]
	v_add_f64 v[28:29], v[153:154], v[28:29]
	v_mul_f64 v[151:152], v[117:118], s[22:23]
	v_fma_f64 v[153:154], v[129:130], s[18:19], -v[155:156]
	v_fma_f64 v[155:156], v[127:128], s[18:19], v[157:158]
	v_add_f64 v[70:71], v[70:71], v[72:73]
	v_mul_f64 v[72:73], v[104:105], s[26:27]
	v_add_f64 v[74:75], v[143:144], v[74:75]
	v_fma_f64 v[143:144], v[123:124], s[20:21], v[68:69]
	v_fma_f64 v[68:69], v[123:124], s[20:21], -v[68:69]
	v_add_f64 v[157:158], v[30:31], v[26:27]
	v_add_f64 v[159:160], v[28:29], v[24:25]
	v_fma_f64 v[147:148], v[98:99], s[20:21], -v[151:152]
	v_add_f64 v[149:150], v[153:154], v[149:150]
	v_mul_f64 v[153:154], v[131:132], s[26:27]
	v_fma_f64 v[151:152], v[98:99], s[20:21], v[151:152]
	v_add_f64 v[70:71], v[155:156], v[70:71]
	v_mul_f64 v[155:156], v[102:103], s[30:31]
	v_add_f64 v[74:75], v[143:144], v[74:75]
	v_fma_f64 v[143:144], v[88:89], s[24:25], v[72:73]
	v_fma_f64 v[72:73], v[88:89], s[24:25], -v[72:73]
	v_add_f64 v[22:23], v[157:158], v[22:23]
	v_add_f64 v[20:21], v[159:160], v[20:21]
	;; [unrolled: 1-line block ×4, first 2 shown]
	v_fma_f64 v[147:148], v[125:126], s[24:25], -v[153:154]
	v_mul_f64 v[149:150], v[121:122], s[30:31]
	v_fma_f64 v[153:154], v[125:126], s[24:25], v[153:154]
	v_add_f64 v[70:71], v[151:152], v[70:71]
	v_mul_f64 v[151:152], v[100:101], s[38:39]
	v_add_f64 v[74:75], v[143:144], v[74:75]
	v_fma_f64 v[143:144], v[96:97], s[28:29], v[155:156]
	v_fma_f64 v[155:156], v[96:97], s[28:29], -v[155:156]
	v_add_f64 v[18:19], v[22:23], v[18:19]
	v_add_f64 v[16:17], v[20:21], v[16:17]
	;; [unrolled: 1-line block ×4, first 2 shown]
	v_fma_f64 v[147:148], v[86:87], s[28:29], -v[149:150]
	v_mul_f64 v[72:73], v[82:83], s[38:39]
	v_fma_f64 v[149:150], v[86:87], s[28:29], v[149:150]
	v_add_f64 v[70:71], v[153:154], v[70:71]
	v_mul_f64 v[153:154], v[94:95], s[42:43]
	v_add_f64 v[74:75], v[143:144], v[74:75]
	v_mul_f64 v[143:144], v[78:79], s[42:43]
	v_add_f64 v[68:69], v[155:156], v[68:69]
	v_add_f64 v[145:146], v[147:148], v[145:146]
	v_fma_f64 v[147:148], v[84:85], s[36:37], v[151:152]
	v_fma_f64 v[155:156], v[80:81], s[36:37], -v[72:73]
	v_fma_f64 v[151:152], v[84:85], s[36:37], -v[151:152]
	v_add_f64 v[70:71], v[149:150], v[70:71]
	v_mul_f64 v[149:150], v[133:134], s[16:17]
	v_fma_f64 v[72:73], v[80:81], s[36:37], v[72:73]
	v_fma_f64 v[24:25], v[92:93], s[34:35], v[153:154]
	v_fma_f64 v[28:29], v[76:77], s[34:35], -v[143:144]
	v_fma_f64 v[143:144], v[76:77], s[34:35], v[143:144]
	v_add_f64 v[26:27], v[147:148], v[74:75]
	v_mul_f64 v[74:75], v[135:136], s[16:17]
	v_add_f64 v[30:31], v[155:156], v[145:146]
	v_mul_f64 v[145:146], v[108:109], s[30:31]
	;; [unrolled: 2-line block ×3, first 2 shown]
	v_fma_f64 v[151:152], v[92:93], s[34:35], -v[153:154]
	v_add_f64 v[70:71], v[72:73], v[70:71]
	v_fma_f64 v[72:73], v[137:138], s[18:19], v[149:150]
	v_fma_f64 v[149:150], v[137:138], s[18:19], -v[149:150]
	v_add_f64 v[26:27], v[24:25], v[26:27]
	v_fma_f64 v[153:154], v[139:140], s[18:19], -v[74:75]
	v_add_f64 v[24:25], v[28:29], v[30:31]
	v_fma_f64 v[155:156], v[114:115], s[28:29], v[145:146]
	v_fma_f64 v[74:75], v[139:140], s[18:19], v[74:75]
	v_fma_f64 v[145:146], v[114:115], s[28:29], -v[145:146]
	v_add_f64 v[30:31], v[151:152], v[68:69]
	v_add_f64 v[28:29], v[143:144], v[70:71]
	;; [unrolled: 1-line block ×3, first 2 shown]
	v_fma_f64 v[68:69], v[112:113], s[28:29], -v[147:148]
	v_mul_f64 v[143:144], v[110:111], s[40:41]
	v_fma_f64 v[147:148], v[112:113], s[28:29], v[147:148]
	v_add_f64 v[149:150], v[66:67], v[149:150]
	v_mul_f64 v[151:152], v[90:91], s[40:41]
	v_add_f64 v[70:71], v[64:65], v[153:154]
	v_add_f64 v[74:75], v[64:65], v[74:75]
	;; [unrolled: 1-line block ×3, first 2 shown]
	v_mul_f64 v[155:156], v[110:111], s[44:45]
	v_add_f64 v[145:146], v[145:146], v[149:150]
	v_mul_f64 v[149:150], v[119:120], s[46:47]
	v_add_f64 v[68:69], v[68:69], v[70:71]
	v_fma_f64 v[70:71], v[129:130], s[34:35], v[143:144]
	v_fma_f64 v[143:144], v[129:130], s[34:35], -v[143:144]
	v_add_f64 v[74:75], v[147:148], v[74:75]
	v_fma_f64 v[147:148], v[127:128], s[34:35], -v[151:152]
	v_fma_f64 v[151:152], v[127:128], s[34:35], v[151:152]
	v_add_f64 v[70:71], v[70:71], v[72:73]
	v_mul_f64 v[72:73], v[117:118], s[46:47]
	v_add_f64 v[143:144], v[143:144], v[145:146]
	v_add_f64 v[68:69], v[147:148], v[68:69]
	v_fma_f64 v[147:148], v[123:124], s[24:25], v[149:150]
	v_add_f64 v[74:75], v[151:152], v[74:75]
	v_mul_f64 v[151:152], v[104:105], s[44:45]
	v_fma_f64 v[149:150], v[123:124], s[24:25], -v[149:150]
	v_fma_f64 v[145:146], v[98:99], s[24:25], -v[72:73]
	v_fma_f64 v[72:73], v[98:99], s[24:25], v[72:73]
	v_add_f64 v[70:71], v[147:148], v[70:71]
	v_mul_f64 v[147:148], v[131:132], s[44:45]
	v_add_f64 v[143:144], v[149:150], v[143:144]
	v_add_f64 v[68:69], v[145:146], v[68:69]
	v_fma_f64 v[145:146], v[88:89], s[10:11], v[151:152]
	v_fma_f64 v[151:152], v[88:89], s[10:11], -v[151:152]
	v_add_f64 v[72:73], v[72:73], v[74:75]
	v_fma_f64 v[149:150], v[125:126], s[10:11], -v[147:148]
	v_mul_f64 v[74:75], v[100:101], s[22:23]
	v_fma_f64 v[147:148], v[125:126], s[10:11], v[147:148]
	v_add_f64 v[70:71], v[145:146], v[70:71]
	v_mul_f64 v[145:146], v[102:103], s[2:3]
	v_add_f64 v[143:144], v[151:152], v[143:144]
	v_add_f64 v[68:69], v[149:150], v[68:69]
	v_fma_f64 v[151:152], v[84:85], s[20:21], v[74:75]
	v_add_f64 v[72:73], v[147:148], v[72:73]
	v_mul_f64 v[147:148], v[82:83], s[22:23]
	v_fma_f64 v[74:75], v[84:85], s[20:21], -v[74:75]
	v_fma_f64 v[149:150], v[96:97], s[0:1], v[145:146]
	v_fma_f64 v[145:146], v[96:97], s[0:1], -v[145:146]
	v_add_f64 v[70:71], v[149:150], v[70:71]
	v_mul_f64 v[149:150], v[121:122], s[2:3]
	v_add_f64 v[143:144], v[145:146], v[143:144]
	v_mul_f64 v[145:146], v[94:95], s[38:39]
	v_add_f64 v[70:71], v[151:152], v[70:71]
	v_fma_f64 v[153:154], v[86:87], s[0:1], -v[149:150]
	v_fma_f64 v[149:150], v[86:87], s[0:1], v[149:150]
	v_fma_f64 v[151:152], v[80:81], s[20:21], -v[147:148]
	v_fma_f64 v[147:148], v[80:81], s[20:21], v[147:148]
	v_add_f64 v[74:75], v[74:75], v[143:144]
	v_add_f64 v[68:69], v[153:154], v[68:69]
	;; [unrolled: 1-line block ×3, first 2 shown]
	v_mul_f64 v[149:150], v[78:79], s[38:39]
	v_mul_f64 v[153:154], v[106:107], s[48:49]
	v_add_f64 v[68:69], v[151:152], v[68:69]
	v_fma_f64 v[151:152], v[92:93], s[36:37], v[145:146]
	v_fma_f64 v[143:144], v[76:77], s[36:37], -v[149:150]
	v_add_f64 v[72:73], v[147:148], v[72:73]
	v_fma_f64 v[145:146], v[92:93], s[36:37], -v[145:146]
	v_fma_f64 v[147:148], v[76:77], s[36:37], v[149:150]
	v_mul_f64 v[149:150], v[135:136], s[26:27]
	v_add_f64 v[70:71], v[151:152], v[70:71]
	v_add_f64 v[68:69], v[143:144], v[68:69]
	v_mul_f64 v[143:144], v[133:134], s[26:27]
	v_add_f64 v[74:75], v[145:146], v[74:75]
	v_add_f64 v[72:73], v[147:148], v[72:73]
	v_mul_f64 v[145:146], v[108:109], s[48:49]
	v_fma_f64 v[151:152], v[139:140], s[24:25], -v[149:150]
	v_fma_f64 v[147:148], v[137:138], s[24:25], v[143:144]
	v_fma_f64 v[143:144], v[137:138], s[24:25], -v[143:144]
	v_fma_f64 v[20:21], v[114:115], s[36:37], v[145:146]
	v_fma_f64 v[145:146], v[114:115], s[36:37], -v[145:146]
	v_add_f64 v[22:23], v[66:67], v[147:148]
	v_add_f64 v[147:148], v[64:65], v[151:152]
	v_fma_f64 v[151:152], v[112:113], s[36:37], -v[153:154]
	v_add_f64 v[143:144], v[66:67], v[143:144]
	v_add_f64 v[20:21], v[20:21], v[22:23]
	;; [unrolled: 1-line block ×3, first 2 shown]
	v_fma_f64 v[147:148], v[129:130], s[10:11], v[155:156]
	v_mul_f64 v[151:152], v[90:91], s[44:45]
	v_add_f64 v[143:144], v[145:146], v[143:144]
	v_fma_f64 v[145:146], v[139:140], s[24:25], v[149:150]
	v_fma_f64 v[149:150], v[112:113], s[36:37], v[153:154]
	v_add_f64 v[20:21], v[147:148], v[20:21]
	v_fma_f64 v[147:148], v[127:128], s[10:11], -v[151:152]
	v_add_f64 v[145:146], v[64:65], v[145:146]
	v_add_f64 v[22:23], v[147:148], v[22:23]
	v_mul_f64 v[147:148], v[119:120], s[16:17]
	v_add_f64 v[145:146], v[149:150], v[145:146]
	v_fma_f64 v[149:150], v[129:130], s[10:11], -v[155:156]
	v_fma_f64 v[157:158], v[123:124], s[18:19], v[147:148]
	v_fma_f64 v[147:148], v[123:124], s[18:19], -v[147:148]
	v_add_f64 v[143:144], v[149:150], v[143:144]
	v_fma_f64 v[149:150], v[127:128], s[10:11], v[151:152]
	v_add_f64 v[20:21], v[157:158], v[20:21]
	v_mul_f64 v[157:158], v[117:118], s[16:17]
	v_add_f64 v[143:144], v[147:148], v[143:144]
	v_add_f64 v[145:146], v[149:150], v[145:146]
	v_mul_f64 v[149:150], v[100:101], s[2:3]
	v_fma_f64 v[159:160], v[98:99], s[18:19], -v[157:158]
	v_fma_f64 v[147:148], v[98:99], s[18:19], v[157:158]
	v_add_f64 v[157:158], v[18:19], v[14:15]
	v_add_f64 v[22:23], v[159:160], v[22:23]
	v_mul_f64 v[159:160], v[104:105], s[42:43]
	v_add_f64 v[145:146], v[147:148], v[145:146]
	v_add_f64 v[10:11], v[157:158], v[10:11]
	v_mul_f64 v[157:158], v[135:136], s[40:41]
	v_fma_f64 v[161:162], v[88:89], s[34:35], v[159:160]
	v_fma_f64 v[147:148], v[88:89], s[34:35], -v[159:160]
	v_mul_f64 v[159:160], v[133:134], s[40:41]
	v_add_f64 v[6:7], v[10:11], v[6:7]
	v_add_f64 v[20:21], v[161:162], v[20:21]
	v_mul_f64 v[161:162], v[131:132], s[42:43]
	v_add_f64 v[143:144], v[147:148], v[143:144]
	v_fma_f64 v[147:148], v[84:85], s[0:1], v[149:150]
	v_fma_f64 v[149:150], v[84:85], s[0:1], -v[149:150]
	v_fma_f64 v[163:164], v[125:126], s[34:35], -v[161:162]
	v_fma_f64 v[151:152], v[125:126], s[34:35], v[161:162]
	v_mul_f64 v[161:162], v[135:136], s[50:51]
	v_add_f64 v[22:23], v[163:164], v[22:23]
	v_mul_f64 v[163:164], v[102:103], s[50:51]
	v_add_f64 v[145:146], v[151:152], v[145:146]
	v_mul_f64 v[151:152], v[82:83], s[2:3]
	v_fma_f64 v[169:170], v[139:140], s[20:21], v[161:162]
	v_fma_f64 v[161:162], v[139:140], s[20:21], -v[161:162]
	v_fma_f64 v[165:166], v[96:97], s[20:21], v[163:164]
	v_fma_f64 v[153:154], v[96:97], s[20:21], -v[163:164]
	v_add_f64 v[169:170], v[64:65], v[169:170]
	v_add_f64 v[161:162], v[64:65], v[161:162]
	;; [unrolled: 1-line block ×3, first 2 shown]
	v_mul_f64 v[165:166], v[121:122], s[50:51]
	v_add_f64 v[143:144], v[153:154], v[143:144]
	v_mul_f64 v[153:154], v[94:95], s[30:31]
	v_add_f64 v[20:21], v[147:148], v[20:21]
	v_fma_f64 v[167:168], v[86:87], s[20:21], -v[165:166]
	v_fma_f64 v[155:156], v[86:87], s[20:21], v[165:166]
	v_fma_f64 v[147:148], v[80:81], s[0:1], -v[151:152]
	v_fma_f64 v[151:152], v[80:81], s[0:1], v[151:152]
	v_add_f64 v[143:144], v[149:150], v[143:144]
	v_fma_f64 v[18:19], v[92:93], s[28:29], -v[153:154]
	v_fma_f64 v[165:166], v[139:140], s[34:35], -v[157:158]
	v_fma_f64 v[157:158], v[139:140], s[34:35], v[157:158]
	v_add_f64 v[22:23], v[167:168], v[22:23]
	v_add_f64 v[145:146], v[155:156], v[145:146]
	v_mul_f64 v[155:156], v[78:79], s[30:31]
	v_add_f64 v[18:19], v[18:19], v[143:144]
	v_add_f64 v[157:158], v[64:65], v[157:158]
	;; [unrolled: 1-line block ×3, first 2 shown]
	v_fma_f64 v[147:148], v[92:93], s[28:29], v[153:154]
	v_fma_f64 v[149:150], v[76:77], s[28:29], -v[155:156]
	v_add_f64 v[145:146], v[151:152], v[145:146]
	v_add_f64 v[151:152], v[16:17], v[12:13]
	v_fma_f64 v[153:154], v[76:77], s[28:29], v[155:156]
	v_mul_f64 v[155:156], v[133:134], s[38:39]
	v_add_f64 v[14:15], v[147:148], v[20:21]
	v_mul_f64 v[20:21], v[133:134], s[52:53]
	v_add_f64 v[12:13], v[149:150], v[22:23]
	v_mul_f64 v[22:23], v[133:134], s[50:51]
	v_mul_f64 v[133:134], v[133:134], s[44:45]
	v_add_f64 v[8:9], v[151:152], v[8:9]
	v_add_f64 v[16:17], v[153:154], v[145:146]
	v_fma_f64 v[143:144], v[137:138], s[36:37], -v[155:156]
	v_fma_f64 v[145:146], v[137:138], s[36:37], v[155:156]
	v_fma_f64 v[147:148], v[137:138], s[34:35], v[159:160]
	v_fma_f64 v[149:150], v[137:138], s[34:35], -v[159:160]
	v_mul_f64 v[159:160], v[135:136], s[52:53]
	v_fma_f64 v[151:152], v[137:138], s[28:29], v[20:21]
	v_fma_f64 v[20:21], v[137:138], s[28:29], -v[20:21]
	v_fma_f64 v[153:154], v[137:138], s[20:21], -v[22:23]
	v_fma_f64 v[22:23], v[137:138], s[20:21], v[22:23]
	v_fma_f64 v[155:156], v[137:138], s[10:11], -v[133:134]
	v_fma_f64 v[133:134], v[137:138], s[10:11], v[133:134]
	v_mul_f64 v[137:138], v[135:136], s[38:39]
	v_mul_f64 v[135:136], v[135:136], s[44:45]
	v_add_f64 v[10:11], v[8:9], v[4:5]
	v_mul_f64 v[4:5], v[108:109], s[54:55]
	v_fma_f64 v[167:168], v[139:140], s[28:29], -v[159:160]
	v_fma_f64 v[159:160], v[139:140], s[28:29], v[159:160]
	v_add_f64 v[147:148], v[66:67], v[147:148]
	v_add_f64 v[149:150], v[66:67], v[149:150]
	;; [unrolled: 1-line block ×7, first 2 shown]
	v_fma_f64 v[163:164], v[139:140], s[36:37], -v[137:138]
	v_fma_f64 v[137:138], v[139:140], s[36:37], v[137:138]
	v_fma_f64 v[171:172], v[139:140], s[10:11], v[135:136]
	v_fma_f64 v[135:136], v[139:140], s[10:11], -v[135:136]
	v_add_f64 v[139:140], v[66:67], v[143:144]
	v_fma_f64 v[8:9], v[114:115], s[18:19], -v[4:5]
	v_add_f64 v[143:144], v[66:67], v[145:146]
	v_fma_f64 v[4:5], v[114:115], s[18:19], v[4:5]
	v_add_f64 v[66:67], v[66:67], v[133:134]
	v_mul_f64 v[133:134], v[106:107], s[54:55]
	v_add_f64 v[159:160], v[64:65], v[159:160]
	v_add_f64 v[145:146], v[64:65], v[163:164]
	;; [unrolled: 1-line block ×7, first 2 shown]
	v_mul_f64 v[139:140], v[110:111], s[22:23]
	v_add_f64 v[4:5], v[4:5], v[143:144]
	v_add_f64 v[64:65], v[64:65], v[135:136]
	v_fma_f64 v[135:136], v[112:113], s[18:19], -v[133:134]
	v_fma_f64 v[133:134], v[112:113], s[18:19], v[133:134]
	v_fma_f64 v[143:144], v[129:130], s[20:21], -v[139:140]
	v_fma_f64 v[139:140], v[129:130], s[20:21], v[139:140]
	v_add_f64 v[135:136], v[135:136], v[145:146]
	v_add_f64 v[133:134], v[133:134], v[137:138]
	;; [unrolled: 1-line block ×4, first 2 shown]
	v_mul_f64 v[139:140], v[90:91], s[22:23]
	v_fma_f64 v[143:144], v[127:128], s[20:21], -v[139:140]
	v_fma_f64 v[139:140], v[127:128], s[20:21], v[139:140]
	v_add_f64 v[135:136], v[143:144], v[135:136]
	v_mul_f64 v[143:144], v[119:120], s[52:53]
	v_add_f64 v[133:134], v[139:140], v[133:134]
	v_mul_f64 v[139:140], v[108:109], s[2:3]
	v_fma_f64 v[145:146], v[123:124], s[28:29], -v[143:144]
	v_fma_f64 v[143:144], v[123:124], s[28:29], v[143:144]
	v_add_f64 v[8:9], v[145:146], v[8:9]
	v_add_f64 v[4:5], v[143:144], v[4:5]
	v_mul_f64 v[143:144], v[117:118], s[52:53]
	v_fma_f64 v[145:146], v[98:99], s[28:29], -v[143:144]
	v_fma_f64 v[143:144], v[98:99], s[28:29], v[143:144]
	v_add_f64 v[135:136], v[145:146], v[135:136]
	v_mul_f64 v[145:146], v[104:105], s[2:3]
	v_add_f64 v[133:134], v[143:144], v[133:134]
	v_mul_f64 v[143:144], v[110:111], s[48:49]
	v_fma_f64 v[171:172], v[88:89], s[0:1], -v[145:146]
	v_fma_f64 v[145:146], v[88:89], s[0:1], v[145:146]
	v_add_f64 v[8:9], v[171:172], v[8:9]
	v_add_f64 v[4:5], v[145:146], v[4:5]
	v_mul_f64 v[145:146], v[131:132], s[2:3]
	v_fma_f64 v[171:172], v[125:126], s[0:1], -v[145:146]
	v_fma_f64 v[145:146], v[125:126], s[0:1], v[145:146]
	v_add_f64 v[135:136], v[171:172], v[135:136]
	v_mul_f64 v[171:172], v[102:103], s[42:43]
	v_add_f64 v[133:134], v[145:146], v[133:134]
	v_fma_f64 v[137:138], v[96:97], s[34:35], v[171:172]
	v_fma_f64 v[173:174], v[96:97], s[34:35], -v[171:172]
	v_add_f64 v[4:5], v[137:138], v[4:5]
	v_mul_f64 v[137:138], v[121:122], s[42:43]
	v_add_f64 v[8:9], v[173:174], v[8:9]
	s_mov_b32 s43, 0x3fc7851a
	s_mov_b32 s42, s2
	v_fma_f64 v[171:172], v[86:87], s[34:35], -v[137:138]
	v_fma_f64 v[137:138], v[86:87], s[34:35], v[137:138]
	v_add_f64 v[135:136], v[171:172], v[135:136]
	v_mul_f64 v[171:172], v[100:101], s[44:45]
	v_add_f64 v[133:134], v[137:138], v[133:134]
	v_mul_f64 v[137:138], v[106:107], s[26:27]
	v_fma_f64 v[173:174], v[84:85], s[10:11], -v[171:172]
	v_fma_f64 v[171:172], v[84:85], s[10:11], v[171:172]
	v_add_f64 v[8:9], v[173:174], v[8:9]
	v_fma_f64 v[173:174], v[114:115], s[0:1], v[139:140]
	v_fma_f64 v[139:140], v[114:115], s[0:1], -v[139:140]
	v_add_f64 v[171:172], v[171:172], v[4:5]
	v_mul_f64 v[4:5], v[82:83], s[44:45]
	v_add_f64 v[147:148], v[173:174], v[147:148]
	v_add_f64 v[139:140], v[139:140], v[149:150]
	v_fma_f64 v[149:150], v[129:130], s[36:37], v[143:144]
	v_fma_f64 v[143:144], v[129:130], s[36:37], -v[143:144]
	v_fma_f64 v[173:174], v[80:81], s[10:11], -v[4:5]
	v_fma_f64 v[4:5], v[80:81], s[10:11], v[4:5]
	v_add_f64 v[147:148], v[149:150], v[147:148]
	v_add_f64 v[139:140], v[143:144], v[139:140]
	v_mul_f64 v[143:144], v[119:120], s[8:9]
	v_add_f64 v[135:136], v[173:174], v[135:136]
	v_mul_f64 v[173:174], v[106:107], s[2:3]
	v_mul_f64 v[149:150], v[90:91], s[48:49]
	v_add_f64 v[133:134], v[4:5], v[133:134]
	v_mul_f64 v[4:5], v[100:101], s[46:47]
	v_fma_f64 v[145:146], v[123:124], s[10:11], v[143:144]
	v_fma_f64 v[143:144], v[123:124], s[10:11], -v[143:144]
	v_fma_f64 v[175:176], v[112:113], s[0:1], -v[173:174]
	v_add_f64 v[145:146], v[145:146], v[147:148]
	v_fma_f64 v[147:148], v[112:113], s[0:1], v[173:174]
	v_add_f64 v[163:164], v[175:176], v[163:164]
	v_fma_f64 v[175:176], v[127:128], s[36:37], -v[149:150]
	v_fma_f64 v[149:150], v[127:128], s[36:37], v[149:150]
	v_add_f64 v[139:140], v[143:144], v[139:140]
	v_mul_f64 v[143:144], v[104:105], s[52:53]
	v_add_f64 v[147:148], v[147:148], v[157:158]
	v_mul_f64 v[157:158], v[108:109], s[26:27]
	v_add_f64 v[163:164], v[175:176], v[163:164]
	v_add_f64 v[147:148], v[149:150], v[147:148]
	v_fma_f64 v[173:174], v[114:115], s[24:25], v[157:158]
	v_fma_f64 v[157:158], v[114:115], s[24:25], -v[157:158]
	v_mul_f64 v[149:150], v[110:111], s[42:43]
	v_add_f64 v[151:152], v[173:174], v[151:152]
	v_mul_f64 v[173:174], v[117:118], s[8:9]
	v_add_f64 v[20:21], v[157:158], v[20:21]
	v_fma_f64 v[157:158], v[129:130], s[0:1], v[149:150]
	v_fma_f64 v[149:150], v[129:130], s[0:1], -v[149:150]
	v_fma_f64 v[175:176], v[98:99], s[10:11], -v[173:174]
	v_add_f64 v[151:152], v[157:158], v[151:152]
	v_mul_f64 v[157:158], v[131:132], s[52:53]
	v_add_f64 v[20:21], v[149:150], v[20:21]
	v_fma_f64 v[149:150], v[98:99], s[10:11], v[173:174]
	v_add_f64 v[163:164], v[175:176], v[163:164]
	v_fma_f64 v[175:176], v[112:113], s[24:25], -v[137:138]
	v_fma_f64 v[137:138], v[112:113], s[24:25], v[137:138]
	v_add_f64 v[147:148], v[149:150], v[147:148]
	v_mul_f64 v[149:150], v[119:120], s[48:49]
	v_add_f64 v[165:166], v[175:176], v[165:166]
	v_fma_f64 v[175:176], v[88:89], s[28:29], v[143:144]
	v_fma_f64 v[143:144], v[88:89], s[28:29], -v[143:144]
	v_add_f64 v[137:138], v[137:138], v[159:160]
	v_mul_f64 v[159:160], v[117:118], s[48:49]
	v_fma_f64 v[173:174], v[123:124], s[36:37], v[149:150]
	v_add_f64 v[145:146], v[175:176], v[145:146]
	v_fma_f64 v[175:176], v[125:126], s[28:29], -v[157:158]
	v_add_f64 v[139:140], v[143:144], v[139:140]
	v_mul_f64 v[143:144], v[102:103], s[16:17]
	v_add_f64 v[151:152], v[173:174], v[151:152]
	v_mul_f64 v[173:174], v[121:122], s[16:17]
	;; [unrolled: 2-line block ×3, first 2 shown]
	v_fma_f64 v[177:178], v[127:128], s[0:1], -v[175:176]
	v_add_f64 v[165:166], v[177:178], v[165:166]
	v_fma_f64 v[177:178], v[96:97], s[18:19], v[143:144]
	v_fma_f64 v[143:144], v[96:97], s[18:19], -v[143:144]
	v_add_f64 v[145:146], v[177:178], v[145:146]
	v_add_f64 v[139:140], v[143:144], v[139:140]
	v_fma_f64 v[143:144], v[84:85], s[24:25], v[4:5]
	v_fma_f64 v[4:5], v[84:85], s[24:25], -v[4:5]
	v_fma_f64 v[177:178], v[86:87], s[18:19], -v[173:174]
	v_add_f64 v[143:144], v[143:144], v[145:146]
	v_fma_f64 v[145:146], v[123:124], s[36:37], -v[149:150]
	v_add_f64 v[139:140], v[4:5], v[139:140]
	v_add_f64 v[163:164], v[177:178], v[163:164]
	v_fma_f64 v[177:178], v[98:99], s[36:37], -v[159:160]
	v_add_f64 v[20:21], v[145:146], v[20:21]
	v_fma_f64 v[145:146], v[125:126], s[28:29], v[157:158]
	v_add_f64 v[165:166], v[177:178], v[165:166]
	v_add_f64 v[145:146], v[145:146], v[147:148]
	v_mul_f64 v[147:148], v[104:105], s[22:23]
	v_fma_f64 v[149:150], v[88:89], s[20:21], v[147:148]
	v_fma_f64 v[4:5], v[88:89], s[20:21], -v[147:148]
	v_add_f64 v[149:150], v[149:150], v[151:152]
	v_mul_f64 v[151:152], v[82:83], s[46:47]
	v_add_f64 v[4:5], v[4:5], v[20:21]
	v_fma_f64 v[20:21], v[86:87], s[18:19], v[173:174]
	v_fma_f64 v[157:158], v[80:81], s[24:25], -v[151:152]
	v_add_f64 v[20:21], v[20:21], v[145:146]
	v_mul_f64 v[145:146], v[102:103], s[44:45]
	v_add_f64 v[157:158], v[157:158], v[163:164]
	v_fma_f64 v[163:164], v[127:128], s[0:1], v[175:176]
	v_fma_f64 v[147:148], v[96:97], s[10:11], v[145:146]
	v_fma_f64 v[145:146], v[96:97], s[10:11], -v[145:146]
	v_add_f64 v[137:138], v[163:164], v[137:138]
	v_mul_f64 v[163:164], v[131:132], s[22:23]
	v_add_f64 v[147:148], v[147:148], v[149:150]
	v_fma_f64 v[149:150], v[98:99], s[36:37], v[159:160]
	v_add_f64 v[4:5], v[145:146], v[4:5]
	v_fma_f64 v[145:146], v[125:126], s[20:21], v[163:164]
	v_fma_f64 v[175:176], v[125:126], s[20:21], -v[163:164]
	v_add_f64 v[137:138], v[149:150], v[137:138]
	v_mul_f64 v[149:150], v[121:122], s[44:45]
	v_add_f64 v[165:166], v[175:176], v[165:166]
	v_add_f64 v[137:138], v[145:146], v[137:138]
	v_mul_f64 v[145:146], v[108:109], s[40:41]
	v_mul_f64 v[108:109], v[108:109], s[50:51]
	v_fma_f64 v[159:160], v[86:87], s[10:11], -v[149:150]
	v_fma_f64 v[163:164], v[114:115], s[34:35], -v[145:146]
	v_fma_f64 v[145:146], v[114:115], s[34:35], v[145:146]
	v_add_f64 v[159:160], v[159:160], v[165:166]
	v_add_f64 v[153:154], v[163:164], v[153:154]
	v_fma_f64 v[163:164], v[114:115], s[20:21], -v[108:109]
	v_fma_f64 v[108:109], v[114:115], s[20:21], v[108:109]
	v_mul_f64 v[114:115], v[106:107], s[40:41]
	v_add_f64 v[22:23], v[145:146], v[22:23]
	v_mul_f64 v[145:146], v[110:111], s[26:27]
	v_mul_f64 v[110:111], v[110:111], s[52:53]
	;; [unrolled: 1-line block ×3, first 2 shown]
	v_add_f64 v[66:67], v[108:109], v[66:67]
	v_fma_f64 v[165:166], v[112:113], s[34:35], v[114:115]
	v_fma_f64 v[114:115], v[112:113], s[34:35], -v[114:115]
	v_mul_f64 v[108:109], v[90:91], s[26:27]
	v_mul_f64 v[90:91], v[90:91], s[52:53]
	v_fma_f64 v[173:174], v[112:113], s[20:21], v[106:107]
	v_fma_f64 v[106:107], v[112:113], s[20:21], -v[106:107]
	v_add_f64 v[112:113], v[163:164], v[155:156]
	v_add_f64 v[163:164], v[165:166], v[169:170]
	;; [unrolled: 1-line block ×3, first 2 shown]
	v_fma_f64 v[161:162], v[129:130], s[24:25], -v[145:146]
	v_fma_f64 v[145:146], v[129:130], s[24:25], v[145:146]
	v_fma_f64 v[165:166], v[127:128], s[28:29], v[90:91]
	v_fma_f64 v[90:91], v[127:128], s[28:29], -v[90:91]
	v_add_f64 v[64:65], v[106:107], v[64:65]
	v_add_f64 v[155:156], v[173:174], v[167:168]
	;; [unrolled: 1-line block ×3, first 2 shown]
	v_fma_f64 v[161:162], v[129:130], s[28:29], -v[110:111]
	v_fma_f64 v[110:111], v[129:130], s[28:29], v[110:111]
	v_fma_f64 v[129:130], v[127:128], s[24:25], v[108:109]
	v_fma_f64 v[108:109], v[127:128], s[24:25], -v[108:109]
	v_add_f64 v[22:23], v[145:146], v[22:23]
	v_add_f64 v[64:65], v[90:91], v[64:65]
	;; [unrolled: 1-line block ×4, first 2 shown]
	v_mul_f64 v[110:111], v[117:118], s[2:3]
	v_add_f64 v[108:109], v[108:109], v[114:115]
	v_mul_f64 v[114:115], v[119:120], s[2:3]
	v_mul_f64 v[119:120], v[119:120], s[40:41]
	v_add_f64 v[127:128], v[129:130], v[163:164]
	v_mul_f64 v[117:118], v[117:118], s[40:41]
	v_add_f64 v[112:113], v[165:166], v[155:156]
	v_fma_f64 v[129:130], v[123:124], s[0:1], -v[114:115]
	v_fma_f64 v[145:146], v[123:124], s[34:35], -v[119:120]
	v_fma_f64 v[114:115], v[123:124], s[0:1], v[114:115]
	v_fma_f64 v[119:120], v[123:124], s[34:35], v[119:120]
	;; [unrolled: 1-line block ×3, first 2 shown]
	v_fma_f64 v[110:111], v[98:99], s[0:1], -v[110:111]
	v_add_f64 v[129:130], v[129:130], v[153:154]
	v_add_f64 v[90:91], v[145:146], v[106:107]
	v_mul_f64 v[106:107], v[104:105], s[54:55]
	v_fma_f64 v[153:154], v[98:99], s[34:35], v[117:118]
	v_fma_f64 v[98:99], v[98:99], s[34:35], -v[117:118]
	v_mul_f64 v[104:105], v[104:105], s[38:39]
	v_add_f64 v[123:124], v[123:124], v[127:128]
	v_mul_f64 v[127:128], v[131:132], s[38:39]
	v_mul_f64 v[131:132], v[131:132], s[54:55]
	v_add_f64 v[22:23], v[114:115], v[22:23]
	v_mul_f64 v[114:115], v[102:103], s[48:49]
	v_add_f64 v[108:109], v[110:111], v[108:109]
	v_add_f64 v[66:67], v[119:120], v[66:67]
	v_mul_f64 v[102:103], v[102:103], s[26:27]
	v_fma_f64 v[117:118], v[88:89], s[18:19], -v[106:107]
	v_add_f64 v[112:113], v[153:154], v[112:113]
	v_fma_f64 v[106:107], v[88:89], s[18:19], v[106:107]
	v_fma_f64 v[110:111], v[88:89], s[36:37], -v[104:105]
	v_fma_f64 v[88:89], v[88:89], s[36:37], v[104:105]
	v_fma_f64 v[104:105], v[125:126], s[36:37], v[127:128]
	;; [unrolled: 1-line block ×3, first 2 shown]
	v_add_f64 v[64:65], v[98:99], v[64:65]
	v_mul_f64 v[98:99], v[100:101], s[40:41]
	v_add_f64 v[117:118], v[117:118], v[129:130]
	v_fma_f64 v[129:130], v[125:126], s[18:19], -v[131:132]
	v_fma_f64 v[125:126], v[125:126], s[36:37], -v[127:128]
	;; [unrolled: 1-line block ×3, first 2 shown]
	v_mul_f64 v[131:132], v[121:122], s[26:27]
	v_mul_f64 v[121:122], v[121:122], s[48:49]
	v_add_f64 v[104:105], v[104:105], v[112:113]
	v_add_f64 v[112:113], v[119:120], v[123:124]
	;; [unrolled: 1-line block ×3, first 2 shown]
	v_fma_f64 v[114:115], v[96:97], s[36:37], v[114:115]
	v_add_f64 v[66:67], v[88:89], v[66:67]
	v_mul_f64 v[88:89], v[82:83], s[16:17]
	v_add_f64 v[90:91], v[110:111], v[90:91]
	v_mul_f64 v[110:111], v[100:101], s[30:31]
	v_mul_f64 v[100:101], v[100:101], s[16:17]
	v_add_f64 v[106:107], v[129:130], v[108:109]
	v_fma_f64 v[108:109], v[96:97], s[24:25], -v[102:103]
	v_add_f64 v[117:118], v[127:128], v[117:118]
	v_fma_f64 v[119:120], v[86:87], s[24:25], v[131:132]
	v_fma_f64 v[123:124], v[86:87], s[36:37], v[121:122]
	;; [unrolled: 1-line block ×3, first 2 shown]
	v_fma_f64 v[129:130], v[84:85], s[34:35], -v[98:99]
	v_fma_f64 v[96:97], v[96:97], s[24:25], v[102:103]
	v_fma_f64 v[102:103], v[86:87], s[36:37], -v[121:122]
	v_mul_f64 v[121:122], v[82:83], s[30:31]
	v_mul_f64 v[82:83], v[82:83], s[40:41]
	v_fma_f64 v[86:87], v[86:87], s[24:25], -v[131:132]
	v_add_f64 v[64:65], v[125:126], v[64:65]
	v_add_f64 v[22:23], v[114:115], v[22:23]
	v_fma_f64 v[114:115], v[80:81], s[18:19], v[88:89]
	v_fma_f64 v[145:146], v[84:85], s[28:29], -v[110:111]
	v_fma_f64 v[98:99], v[84:85], s[34:35], v[98:99]
	v_fma_f64 v[110:111], v[84:85], s[28:29], v[110:111]
	v_mul_f64 v[131:132], v[94:95], s[8:9]
	v_mul_f64 v[149:150], v[78:79], s[8:9]
	v_add_f64 v[90:91], v[108:109], v[90:91]
	v_add_f64 v[104:105], v[119:120], v[104:105]
	;; [unrolled: 1-line block ×5, first 2 shown]
	v_fma_f64 v[129:130], v[80:81], s[24:25], v[151:152]
	v_add_f64 v[102:103], v[102:103], v[106:107]
	v_fma_f64 v[106:107], v[80:81], s[28:29], v[121:122]
	v_fma_f64 v[127:128], v[80:81], s[34:35], v[82:83]
	v_fma_f64 v[82:83], v[80:81], s[34:35], -v[82:83]
	v_fma_f64 v[121:122], v[80:81], s[28:29], -v[121:122]
	v_fma_f64 v[80:81], v[80:81], s[18:19], -v[88:89]
	v_add_f64 v[64:65], v[86:87], v[64:65]
	v_mul_f64 v[112:113], v[94:95], s[26:27]
	v_fma_f64 v[123:124], v[84:85], s[18:19], -v[100:101]
	v_add_f64 v[117:118], v[145:146], v[117:118]
	v_fma_f64 v[84:85], v[84:85], s[18:19], v[100:101]
	v_mul_f64 v[100:101], v[94:95], s[22:23]
	v_add_f64 v[66:67], v[96:97], v[66:67]
	v_mul_f64 v[96:97], v[94:95], s[16:17]
	v_mul_f64 v[94:95], v[94:95], s[2:3]
	;; [unrolled: 1-line block ×6, first 2 shown]
	v_add_f64 v[104:105], v[114:115], v[104:105]
	v_fma_f64 v[153:154], v[76:77], s[10:11], v[149:150]
	v_add_f64 v[98:99], v[98:99], v[147:148]
	v_add_f64 v[110:111], v[110:111], v[22:23]
	;; [unrolled: 1-line block ×5, first 2 shown]
	v_fma_f64 v[127:128], v[92:93], s[10:11], -v[131:132]
	v_add_f64 v[147:148], v[82:83], v[159:160]
	v_add_f64 v[163:164], v[80:81], v[64:65]
	;; [unrolled: 1-line block ×3, first 2 shown]
	s_clause 0x1
	buffer_load_dword v0, off, s[56:59], 0 offset:12
	buffer_load_dword v1, off, s[56:59], 0 offset:8
	v_add_f64 v[86:87], v[123:124], v[90:91]
	v_fma_f64 v[88:89], v[92:93], s[24:25], -v[112:113]
	v_fma_f64 v[20:21], v[92:93], s[20:21], -v[100:101]
	;; [unrolled: 1-line block ×4, first 2 shown]
	v_fma_f64 v[151:152], v[76:77], s[0:1], v[145:146]
	v_fma_f64 v[114:115], v[76:77], s[24:25], v[4:5]
	;; [unrolled: 1-line block ×5, first 2 shown]
	v_fma_f64 v[112:113], v[76:77], s[24:25], -v[4:5]
	v_fma_f64 v[100:101], v[92:93], s[20:21], v[100:101]
	v_fma_f64 v[137:138], v[76:77], s[20:21], -v[137:138]
	v_add_f64 v[102:103], v[121:122], v[102:103]
	v_fma_f64 v[96:97], v[92:93], s[18:19], v[96:97]
	v_fma_f64 v[121:122], v[92:93], s[10:11], v[131:132]
	;; [unrolled: 1-line block ×3, first 2 shown]
	v_fma_f64 v[92:93], v[76:77], s[18:19], -v[78:79]
	v_fma_f64 v[149:150], v[76:77], s[10:11], -v[149:150]
	v_add_f64 v[161:162], v[84:85], v[66:67]
	v_fma_f64 v[145:146], v[76:77], s[0:1], -v[145:146]
	v_add_f64 v[82:83], v[6:7], v[2:3]
	v_add_f64 v[66:67], v[127:128], v[117:118]
	;; [unrolled: 1-line block ×21, first 2 shown]
	s_waitcnt vmcnt(1)
	v_and_b32_e32 v0, 0xffff, v0
	s_waitcnt vmcnt(0)
	v_lshl_add_u32 v0, v0, 4, v1
	ds_write_b128 v0, v[80:83]
	ds_write_b128 v0, v[76:79] offset:16
	ds_write_b128 v0, v[64:67] offset:32
	;; [unrolled: 1-line block ×16, first 2 shown]
.LBB0_13:
	s_or_b32 exec_lo, exec_lo, s33
	s_waitcnt lgkmcnt(0)
	s_barrier
	buffer_gl0_inv
	ds_read_b128 v[0:3], v142 offset:272
	ds_read_b128 v[4:7], v142 offset:2176
	;; [unrolled: 1-line block ×8, first 2 shown]
	s_mov_b32 s2, 0x8c811c17
	s_mov_b32 s8, 0xa2cf5039
	s_mov_b32 s1, 0x3fe491b7
	s_mov_b32 s0, 0x523c161c
	s_mov_b32 s3, 0x3fef838b
	s_mov_b32 s9, 0x3fe8836f
	s_mov_b32 s10, 0x7e0b738b
	s_mov_b32 s11, 0x3fc63a1a
	s_waitcnt lgkmcnt(7)
	v_mul_f64 v[64:65], v[42:43], v[2:3]
	v_mul_f64 v[42:43], v[42:43], v[0:1]
	s_waitcnt lgkmcnt(6)
	v_mul_f64 v[66:67], v[50:51], v[6:7]
	v_mul_f64 v[50:51], v[50:51], v[4:5]
	;; [unrolled: 3-line block ×6, first 2 shown]
	v_fma_f64 v[64:65], v[40:41], v[0:1], v[64:65]
	v_fma_f64 v[40:41], v[40:41], v[2:3], -v[42:43]
	ds_read_b128 v[0:3], v142
	v_fma_f64 v[4:5], v[48:49], v[4:5], v[66:67]
	v_fma_f64 v[6:7], v[48:49], v[6:7], -v[50:51]
	v_fma_f64 v[8:9], v[44:45], v[8:9], v[68:69]
	v_fma_f64 v[10:11], v[44:45], v[10:11], -v[46:47]
	;; [unrolled: 2-line block ×5, first 2 shown]
	s_waitcnt lgkmcnt(2)
	v_mul_f64 v[42:43], v[38:39], v[26:27]
	v_mul_f64 v[38:39], v[38:39], v[24:25]
	s_waitcnt lgkmcnt(1)
	v_mul_f64 v[44:45], v[34:35], v[30:31]
	v_mul_f64 v[34:35], v[34:35], v[28:29]
	v_add_f64 v[46:47], v[64:65], -v[4:5]
	v_add_f64 v[48:49], v[40:41], -v[6:7]
	v_add_f64 v[4:5], v[64:65], v[4:5]
	v_add_f64 v[6:7], v[40:41], v[6:7]
	;; [unrolled: 1-line block ×4, first 2 shown]
	v_add_f64 v[52:53], v[8:9], -v[12:13]
	v_add_f64 v[54:55], v[10:11], -v[14:15]
	v_add_f64 v[56:57], v[16:17], v[20:21]
	v_add_f64 v[58:59], v[18:19], v[22:23]
	v_fma_f64 v[24:25], v[36:37], v[24:25], v[42:43]
	v_fma_f64 v[26:27], v[36:37], v[26:27], -v[38:39]
	v_fma_f64 v[28:29], v[32:33], v[28:29], v[44:45]
	v_fma_f64 v[30:31], v[32:33], v[30:31], -v[34:35]
	v_add_f64 v[16:17], v[16:17], -v[20:21]
	v_add_f64 v[18:19], v[18:19], -v[22:23]
	v_mul_f64 v[20:21], v[46:47], s[0:1]
	v_mul_f64 v[22:23], v[48:49], s[0:1]
	s_waitcnt lgkmcnt(0)
	v_fma_f64 v[32:33], v[4:5], s[8:9], v[0:1]
	v_fma_f64 v[34:35], v[6:7], s[8:9], v[2:3]
	s_mov_b32 s1, 0xbfe491b7
	v_fma_f64 v[36:37], v[40:41], s[8:9], v[0:1]
	v_fma_f64 v[38:39], v[50:51], s[8:9], v[2:3]
	v_mul_f64 v[42:43], v[52:53], s[2:3]
	v_mul_f64 v[44:45], v[54:55], s[2:3]
	v_fma_f64 v[60:61], v[56:57], s[8:9], v[0:1]
	v_fma_f64 v[62:63], v[58:59], s[8:9], v[2:3]
	v_mul_f64 v[64:65], v[54:55], s[0:1]
	v_mul_f64 v[66:67], v[52:53], s[0:1]
	v_add_f64 v[68:69], v[24:25], v[28:29]
	v_add_f64 v[70:71], v[26:27], v[30:31]
	v_add_f64 v[72:73], v[56:57], v[4:5]
	v_add_f64 v[74:75], v[58:59], v[6:7]
	v_add_f64 v[24:25], v[24:25], -v[28:29]
	v_add_f64 v[26:27], v[26:27], -v[30:31]
	s_mov_b32 s8, 0xe8584cab
	s_mov_b32 s9, 0x3febb67a
	v_fma_f64 v[20:21], v[16:17], s[2:3], v[20:21]
	v_fma_f64 v[22:23], v[18:19], s[2:3], v[22:23]
	;; [unrolled: 1-line block ×6, first 2 shown]
	v_fma_f64 v[36:37], v[16:17], s[0:1], -v[42:43]
	v_fma_f64 v[38:39], v[18:19], s[0:1], -v[44:45]
	v_fma_f64 v[42:43], v[40:41], s[10:11], v[60:61]
	v_fma_f64 v[44:45], v[50:51], s[10:11], v[62:63]
	;; [unrolled: 1-line block ×4, first 2 shown]
	v_add_f64 v[64:65], v[52:53], v[46:47]
	v_add_f64 v[66:67], v[54:55], v[48:49]
	;; [unrolled: 1-line block ×8, first 2 shown]
	s_mov_b32 s1, 0xbfebb67a
	s_mov_b32 s0, s8
	v_fma_f64 v[20:21], v[24:25], s[8:9], v[20:21]
	v_fma_f64 v[22:23], v[26:27], s[8:9], v[22:23]
	v_fma_f64 v[28:29], v[68:69], -0.5, v[28:29]
	v_fma_f64 v[30:31], v[70:71], -0.5, v[30:31]
	;; [unrolled: 1-line block ×4, first 2 shown]
	v_fma_f64 v[36:37], v[24:25], s[8:9], v[36:37]
	v_fma_f64 v[38:39], v[26:27], s[8:9], v[38:39]
	v_fma_f64 v[42:43], v[68:69], -0.5, v[42:43]
	v_fma_f64 v[44:45], v[70:71], -0.5, v[44:45]
	v_fma_f64 v[26:27], v[26:27], s[0:1], v[60:61]
	v_fma_f64 v[24:25], v[24:25], s[0:1], v[62:63]
	s_mov_b32 s2, 0x748a0bf8
	s_mov_b32 s10, 0x42522d1b
	;; [unrolled: 1-line block ×4, first 2 shown]
	v_add_f64 v[8:9], v[8:9], v[72:73]
	v_add_f64 v[10:11], v[10:11], v[74:75]
	v_add_f64 v[60:61], v[64:65], -v[16:17]
	v_add_f64 v[62:63], v[66:67], -v[18:19]
	v_fma_f64 v[64:65], v[80:81], -0.5, v[76:77]
	v_fma_f64 v[66:67], v[82:83], -0.5, v[78:79]
	v_fma_f64 v[52:53], v[52:53], s[2:3], v[20:21]
	v_fma_f64 v[54:55], v[54:55], s[2:3], v[22:23]
	;; [unrolled: 1-line block ×12, first 2 shown]
	v_add_f64 v[44:45], v[12:13], v[8:9]
	v_add_f64 v[46:47], v[14:15], v[10:11]
	v_mul_f64 v[24:25], v[60:61], s[8:9]
	v_mul_f64 v[26:27], v[62:63], s[8:9]
	v_fma_f64 v[4:5], v[62:63], s[0:1], v[64:65]
	v_fma_f64 v[6:7], v[60:61], s[8:9], v[66:67]
	v_add_f64 v[8:9], v[20:21], -v[54:55]
	v_add_f64 v[10:11], v[52:53], v[22:23]
	v_add_f64 v[12:13], v[36:37], -v[34:35]
	v_add_f64 v[14:15], v[32:33], v[38:39]
	;; [unrolled: 2-line block ×3, first 2 shown]
	v_add_f64 v[0:1], v[0:1], v[44:45]
	v_add_f64 v[2:3], v[2:3], v[46:47]
	v_fma_f64 v[20:21], v[26:27], 2.0, v[4:5]
	v_fma_f64 v[22:23], v[24:25], -2.0, v[6:7]
	v_fma_f64 v[24:25], v[54:55], 2.0, v[8:9]
	v_fma_f64 v[26:27], v[52:53], -2.0, v[10:11]
	;; [unrolled: 2-line block ×4, first 2 shown]
	ds_write_b128 v141, v[4:7] offset:816
	ds_write_b128 v141, v[0:3]
	ds_write_b128 v141, v[8:11] offset:272
	ds_write_b128 v141, v[12:15] offset:1088
	;; [unrolled: 1-line block ×7, first 2 shown]
	s_waitcnt lgkmcnt(0)
	s_barrier
	buffer_gl0_inv
	s_and_b32 exec_lo, exec_lo, vcc_lo
	s_cbranch_execz .LBB0_15
; %bb.14:
	buffer_load_dword v0, off, s[56:59], 0 offset:4 ; 4-byte Folded Reload
	global_load_dwordx4 v[3:6], v255, s[12:13]
	ds_read_b128 v[7:10], v141
	v_mad_u64_u32 v[15:16], null, s6, v116, 0
	s_mov_b32 s0, 0x1ac5701b
	s_mov_b32 s1, 0x3f7ac570
	s_mul_i32 s2, s5, 0x90
	s_mul_hi_u32 s6, s4, 0x90
	s_mul_i32 s3, s4, 0x90
	s_add_i32 s2, s6, s2
	s_waitcnt vmcnt(1)
	v_lshl_add_u32 v2, v0, 4, v255
	ds_read_b128 v[11:14], v2 offset:144
	s_waitcnt vmcnt(0) lgkmcnt(1)
	v_mul_f64 v[0:1], v[9:10], v[5:6]
	v_mul_f64 v[5:6], v[7:8], v[5:6]
	v_fma_f64 v[0:1], v[7:8], v[3:4], v[0:1]
	v_fma_f64 v[5:6], v[3:4], v[9:10], -v[5:6]
	buffer_load_dword v10, off, s[56:59], 0 ; 4-byte Folded Reload
	v_mov_b32_e32 v3, v16
	s_waitcnt vmcnt(0)
	v_mad_u64_u32 v[7:8], null, s4, v10, 0
	v_mov_b32_e32 v4, v8
	v_mad_u64_u32 v[8:9], null, s7, v116, v[3:4]
	v_mad_u64_u32 v[9:10], null, s5, v10, v[4:5]
	v_mul_f64 v[3:4], v[0:1], s[0:1]
	v_mul_f64 v[5:6], v[5:6], s[0:1]
	v_mov_b32_e32 v16, v8
	v_mov_b32_e32 v8, v9
	v_lshlrev_b64 v[0:1], 4, v[15:16]
	v_lshlrev_b64 v[7:8], 4, v[7:8]
	v_add_co_u32 v0, vcc_lo, s14, v0
	v_add_co_ci_u32_e32 v1, vcc_lo, s15, v1, vcc_lo
	v_add_co_u32 v7, vcc_lo, v0, v7
	v_add_co_ci_u32_e32 v8, vcc_lo, v1, v8, vcc_lo
	v_add_co_u32 v15, vcc_lo, v7, s3
	global_store_dwordx4 v[7:8], v[3:6], off
	global_load_dwordx4 v[3:6], v255, s[12:13] offset:144
	v_add_co_ci_u32_e32 v16, vcc_lo, s2, v8, vcc_lo
	s_waitcnt vmcnt(0) lgkmcnt(0)
	v_mul_f64 v[9:10], v[13:14], v[5:6]
	v_mul_f64 v[5:6], v[11:12], v[5:6]
	v_fma_f64 v[9:10], v[11:12], v[3:4], v[9:10]
	v_fma_f64 v[5:6], v[3:4], v[13:14], -v[5:6]
	v_mul_f64 v[3:4], v[9:10], s[0:1]
	v_mul_f64 v[5:6], v[5:6], s[0:1]
	global_store_dwordx4 v[15:16], v[3:6], off
	global_load_dwordx4 v[3:6], v255, s[12:13] offset:288
	ds_read_b128 v[7:10], v2 offset:288
	ds_read_b128 v[11:14], v2 offset:432
	s_waitcnt vmcnt(0) lgkmcnt(1)
	v_mul_f64 v[17:18], v[9:10], v[5:6]
	v_mul_f64 v[5:6], v[7:8], v[5:6]
	v_fma_f64 v[7:8], v[7:8], v[3:4], v[17:18]
	v_fma_f64 v[5:6], v[3:4], v[9:10], -v[5:6]
	v_mul_f64 v[3:4], v[7:8], s[0:1]
	v_mul_f64 v[5:6], v[5:6], s[0:1]
	v_add_co_u32 v7, vcc_lo, v15, s3
	v_add_co_ci_u32_e32 v8, vcc_lo, s2, v16, vcc_lo
	v_add_co_u32 v15, vcc_lo, v7, s3
	v_add_co_ci_u32_e32 v16, vcc_lo, s2, v8, vcc_lo
	global_store_dwordx4 v[7:8], v[3:6], off
	global_load_dwordx4 v[3:6], v255, s[12:13] offset:432
	s_waitcnt vmcnt(0) lgkmcnt(0)
	v_mul_f64 v[9:10], v[13:14], v[5:6]
	v_mul_f64 v[5:6], v[11:12], v[5:6]
	v_fma_f64 v[9:10], v[11:12], v[3:4], v[9:10]
	v_fma_f64 v[5:6], v[3:4], v[13:14], -v[5:6]
	v_mul_f64 v[3:4], v[9:10], s[0:1]
	v_mul_f64 v[5:6], v[5:6], s[0:1]
	global_store_dwordx4 v[15:16], v[3:6], off
	global_load_dwordx4 v[3:6], v255, s[12:13] offset:576
	ds_read_b128 v[7:10], v2 offset:576
	ds_read_b128 v[11:14], v2 offset:720
	s_waitcnt vmcnt(0) lgkmcnt(1)
	v_mul_f64 v[17:18], v[9:10], v[5:6]
	v_mul_f64 v[5:6], v[7:8], v[5:6]
	v_fma_f64 v[7:8], v[7:8], v[3:4], v[17:18]
	v_fma_f64 v[5:6], v[3:4], v[9:10], -v[5:6]
	v_mul_f64 v[3:4], v[7:8], s[0:1]
	v_mul_f64 v[5:6], v[5:6], s[0:1]
	v_add_co_u32 v7, vcc_lo, v15, s3
	v_add_co_ci_u32_e32 v8, vcc_lo, s2, v16, vcc_lo
	v_add_co_u32 v15, vcc_lo, v7, s3
	v_add_co_ci_u32_e32 v16, vcc_lo, s2, v8, vcc_lo
	global_store_dwordx4 v[7:8], v[3:6], off
	global_load_dwordx4 v[3:6], v255, s[12:13] offset:720
	;; [unrolled: 24-line block ×6, first 2 shown]
	s_waitcnt vmcnt(0) lgkmcnt(0)
	v_mul_f64 v[9:10], v[13:14], v[5:6]
	v_mul_f64 v[5:6], v[11:12], v[5:6]
	v_fma_f64 v[9:10], v[11:12], v[3:4], v[9:10]
	v_fma_f64 v[5:6], v[3:4], v[13:14], -v[5:6]
	v_mul_f64 v[3:4], v[9:10], s[0:1]
	v_mul_f64 v[5:6], v[5:6], s[0:1]
	global_store_dwordx4 v[15:16], v[3:6], off
	global_load_dwordx4 v[3:6], v255, s[12:13] offset:2016
	ds_read_b128 v[7:10], v2 offset:2016
	ds_read_b128 v[11:14], v2 offset:2160
	s_waitcnt vmcnt(0) lgkmcnt(1)
	v_mul_f64 v[17:18], v[9:10], v[5:6]
	v_mul_f64 v[5:6], v[7:8], v[5:6]
	v_fma_f64 v[7:8], v[7:8], v[3:4], v[17:18]
	v_fma_f64 v[5:6], v[3:4], v[9:10], -v[5:6]
	v_add_co_u32 v9, s6, s12, v255
	v_add_co_ci_u32_e64 v10, null, s13, 0, s6
	v_mul_f64 v[3:4], v[7:8], s[0:1]
	v_mul_f64 v[5:6], v[5:6], s[0:1]
	v_add_co_u32 v7, vcc_lo, v15, s3
	v_add_co_ci_u32_e32 v8, vcc_lo, s2, v16, vcc_lo
	v_add_co_u32 v9, vcc_lo, 0x800, v9
	v_add_co_ci_u32_e32 v10, vcc_lo, 0, v10, vcc_lo
	global_store_dwordx4 v[7:8], v[3:6], off
	global_load_dwordx4 v[3:6], v[9:10], off offset:112
	v_add_co_u32 v7, vcc_lo, v7, s3
	v_add_co_ci_u32_e32 v8, vcc_lo, s2, v8, vcc_lo
	s_waitcnt vmcnt(0) lgkmcnt(0)
	v_mul_f64 v[9:10], v[13:14], v[5:6]
	v_mul_f64 v[5:6], v[11:12], v[5:6]
	v_fma_f64 v[9:10], v[11:12], v[3:4], v[9:10]
	v_fma_f64 v[5:6], v[3:4], v[13:14], -v[5:6]
	buffer_load_dword v13, off, s[56:59], 0 offset:16 ; 4-byte Folded Reload
	v_mul_f64 v[3:4], v[9:10], s[0:1]
	v_mul_f64 v[5:6], v[5:6], s[0:1]
	global_store_dwordx4 v[7:8], v[3:6], off
	s_waitcnt vmcnt(0)
	v_lshlrev_b32_e32 v9, 4, v13
	global_load_dwordx4 v[3:6], v9, s[12:13]
	ds_read_b128 v[7:10], v2 offset:2304
	s_waitcnt vmcnt(0) lgkmcnt(0)
	v_mul_f64 v[11:12], v[9:10], v[5:6]
	v_mul_f64 v[5:6], v[7:8], v[5:6]
	v_fma_f64 v[7:8], v[7:8], v[3:4], v[11:12]
	v_fma_f64 v[4:5], v[3:4], v[9:10], -v[5:6]
	v_mad_u64_u32 v[9:10], null, s4, v13, 0
	v_mov_b32_e32 v2, v10
	v_mad_u64_u32 v[10:11], null, s5, v13, v[2:3]
	v_mul_f64 v[2:3], v[7:8], s[0:1]
	v_mul_f64 v[4:5], v[4:5], s[0:1]
	v_lshlrev_b64 v[6:7], 4, v[9:10]
	v_add_co_u32 v0, vcc_lo, v0, v6
	v_add_co_ci_u32_e32 v1, vcc_lo, v1, v7, vcc_lo
	global_store_dwordx4 v[0:1], v[2:5], off
.LBB0_15:
	s_endpgm
	.section	.rodata,"a",@progbits
	.p2align	6, 0x0
	.amdhsa_kernel bluestein_single_back_len153_dim1_dp_op_CI_CI
		.amdhsa_group_segment_fixed_size 17136
		.amdhsa_private_segment_fixed_size 608
		.amdhsa_kernarg_size 104
		.amdhsa_user_sgpr_count 6
		.amdhsa_user_sgpr_private_segment_buffer 1
		.amdhsa_user_sgpr_dispatch_ptr 0
		.amdhsa_user_sgpr_queue_ptr 0
		.amdhsa_user_sgpr_kernarg_segment_ptr 1
		.amdhsa_user_sgpr_dispatch_id 0
		.amdhsa_user_sgpr_flat_scratch_init 0
		.amdhsa_user_sgpr_private_segment_size 0
		.amdhsa_wavefront_size32 1
		.amdhsa_uses_dynamic_stack 0
		.amdhsa_system_sgpr_private_segment_wavefront_offset 1
		.amdhsa_system_sgpr_workgroup_id_x 1
		.amdhsa_system_sgpr_workgroup_id_y 0
		.amdhsa_system_sgpr_workgroup_id_z 0
		.amdhsa_system_sgpr_workgroup_info 0
		.amdhsa_system_vgpr_workitem_id 0
		.amdhsa_next_free_vgpr 256
		.amdhsa_next_free_sgpr 60
		.amdhsa_reserve_vcc 1
		.amdhsa_reserve_flat_scratch 0
		.amdhsa_float_round_mode_32 0
		.amdhsa_float_round_mode_16_64 0
		.amdhsa_float_denorm_mode_32 3
		.amdhsa_float_denorm_mode_16_64 3
		.amdhsa_dx10_clamp 1
		.amdhsa_ieee_mode 1
		.amdhsa_fp16_overflow 0
		.amdhsa_workgroup_processor_mode 1
		.amdhsa_memory_ordered 1
		.amdhsa_forward_progress 0
		.amdhsa_shared_vgpr_count 0
		.amdhsa_exception_fp_ieee_invalid_op 0
		.amdhsa_exception_fp_denorm_src 0
		.amdhsa_exception_fp_ieee_div_zero 0
		.amdhsa_exception_fp_ieee_overflow 0
		.amdhsa_exception_fp_ieee_underflow 0
		.amdhsa_exception_fp_ieee_inexact 0
		.amdhsa_exception_int_div_zero 0
	.end_amdhsa_kernel
	.text
.Lfunc_end0:
	.size	bluestein_single_back_len153_dim1_dp_op_CI_CI, .Lfunc_end0-bluestein_single_back_len153_dim1_dp_op_CI_CI
                                        ; -- End function
	.section	.AMDGPU.csdata,"",@progbits
; Kernel info:
; codeLenInByte = 24088
; NumSgprs: 62
; NumVgprs: 256
; ScratchSize: 608
; MemoryBound: 0
; FloatMode: 240
; IeeeMode: 1
; LDSByteSize: 17136 bytes/workgroup (compile time only)
; SGPRBlocks: 7
; VGPRBlocks: 31
; NumSGPRsForWavesPerEU: 62
; NumVGPRsForWavesPerEU: 256
; Occupancy: 4
; WaveLimiterHint : 1
; COMPUTE_PGM_RSRC2:SCRATCH_EN: 1
; COMPUTE_PGM_RSRC2:USER_SGPR: 6
; COMPUTE_PGM_RSRC2:TRAP_HANDLER: 0
; COMPUTE_PGM_RSRC2:TGID_X_EN: 1
; COMPUTE_PGM_RSRC2:TGID_Y_EN: 0
; COMPUTE_PGM_RSRC2:TGID_Z_EN: 0
; COMPUTE_PGM_RSRC2:TIDIG_COMP_CNT: 0
	.text
	.p2alignl 6, 3214868480
	.fill 48, 4, 3214868480
	.type	__hip_cuid_fc80ddb11a64eeb3,@object ; @__hip_cuid_fc80ddb11a64eeb3
	.section	.bss,"aw",@nobits
	.globl	__hip_cuid_fc80ddb11a64eeb3
__hip_cuid_fc80ddb11a64eeb3:
	.byte	0                               ; 0x0
	.size	__hip_cuid_fc80ddb11a64eeb3, 1

	.ident	"AMD clang version 19.0.0git (https://github.com/RadeonOpenCompute/llvm-project roc-6.4.0 25133 c7fe45cf4b819c5991fe208aaa96edf142730f1d)"
	.section	".note.GNU-stack","",@progbits
	.addrsig
	.addrsig_sym __hip_cuid_fc80ddb11a64eeb3
	.amdgpu_metadata
---
amdhsa.kernels:
  - .args:
      - .actual_access:  read_only
        .address_space:  global
        .offset:         0
        .size:           8
        .value_kind:     global_buffer
      - .actual_access:  read_only
        .address_space:  global
        .offset:         8
        .size:           8
        .value_kind:     global_buffer
      - .actual_access:  read_only
        .address_space:  global
        .offset:         16
        .size:           8
        .value_kind:     global_buffer
      - .actual_access:  read_only
        .address_space:  global
        .offset:         24
        .size:           8
        .value_kind:     global_buffer
      - .actual_access:  read_only
        .address_space:  global
        .offset:         32
        .size:           8
        .value_kind:     global_buffer
      - .offset:         40
        .size:           8
        .value_kind:     by_value
      - .address_space:  global
        .offset:         48
        .size:           8
        .value_kind:     global_buffer
      - .address_space:  global
        .offset:         56
        .size:           8
        .value_kind:     global_buffer
      - .address_space:  global
        .offset:         64
        .size:           8
        .value_kind:     global_buffer
      - .address_space:  global
        .offset:         72
        .size:           8
        .value_kind:     global_buffer
      - .offset:         80
        .size:           4
        .value_kind:     by_value
      - .address_space:  global
        .offset:         88
        .size:           8
        .value_kind:     global_buffer
      - .address_space:  global
        .offset:         96
        .size:           8
        .value_kind:     global_buffer
    .group_segment_fixed_size: 17136
    .kernarg_segment_align: 8
    .kernarg_segment_size: 104
    .language:       OpenCL C
    .language_version:
      - 2
      - 0
    .max_flat_workgroup_size: 119
    .name:           bluestein_single_back_len153_dim1_dp_op_CI_CI
    .private_segment_fixed_size: 608
    .sgpr_count:     62
    .sgpr_spill_count: 0
    .symbol:         bluestein_single_back_len153_dim1_dp_op_CI_CI.kd
    .uniform_work_group_size: 1
    .uses_dynamic_stack: false
    .vgpr_count:     256
    .vgpr_spill_count: 151
    .wavefront_size: 32
    .workgroup_processor_mode: 1
amdhsa.target:   amdgcn-amd-amdhsa--gfx1030
amdhsa.version:
  - 1
  - 2
...

	.end_amdgpu_metadata
